;; amdgpu-corpus repo=ROCm/rocFFT kind=compiled arch=gfx906 opt=O3
	.text
	.amdgcn_target "amdgcn-amd-amdhsa--gfx906"
	.amdhsa_code_object_version 6
	.protected	bluestein_single_back_len91_dim1_half_op_CI_CI ; -- Begin function bluestein_single_back_len91_dim1_half_op_CI_CI
	.globl	bluestein_single_back_len91_dim1_half_op_CI_CI
	.p2align	8
	.type	bluestein_single_back_len91_dim1_half_op_CI_CI,@function
bluestein_single_back_len91_dim1_half_op_CI_CI: ; @bluestein_single_back_len91_dim1_half_op_CI_CI
; %bb.0:
	v_mul_u32_u24_e32 v1, 0x13b2, v0
	s_load_dwordx4 s[8:11], s[4:5], 0x28
	v_lshrrev_b32_e32 v1, 16, v1
	v_mad_u64_u32 v[12:13], s[0:1], s6, 19, v[1:2]
	v_mov_b32_e32 v13, 0
	s_waitcnt lgkmcnt(0)
	v_cmp_gt_u64_e32 vcc, s[8:9], v[12:13]
	s_and_saveexec_b64 s[0:1], vcc
	s_cbranch_execz .LBB0_10
; %bb.1:
	s_load_dwordx4 s[0:3], s[4:5], 0x18
	s_load_dwordx4 s[12:15], s[4:5], 0x0
	v_mul_lo_u16_e32 v1, 13, v1
	v_sub_u16_e32 v34, v0, v1
	v_lshlrev_b32_e32 v37, 2, v34
	s_waitcnt lgkmcnt(0)
	s_load_dwordx4 s[16:19], s[0:1], 0x0
	s_mov_b32 s6, 0xffff
                                        ; implicit-def: $vgpr56
                                        ; implicit-def: $vgpr57
                                        ; implicit-def: $vgpr58
                                        ; implicit-def: $vgpr59
                                        ; implicit-def: $vgpr60
                                        ; implicit-def: $vgpr61
                                        ; implicit-def: $vgpr62
                                        ; implicit-def: $vgpr23
                                        ; implicit-def: $vgpr25
	s_waitcnt lgkmcnt(0)
	v_mad_u64_u32 v[0:1], s[0:1], s18, v12, 0
	v_mad_u64_u32 v[2:3], s[0:1], s16, v34, 0
	;; [unrolled: 1-line block ×4, first 2 shown]
	v_mov_b32_e32 v1, v4
	v_lshlrev_b64 v[0:1], 2, v[0:1]
	v_mov_b32_e32 v6, s11
	v_mov_b32_e32 v3, v5
	v_add_co_u32_e32 v4, vcc, s10, v0
	v_addc_co_u32_e32 v5, vcc, v6, v1, vcc
	v_lshlrev_b64 v[0:1], 2, v[2:3]
	s_mul_i32 s0, s17, 52
	v_add_co_u32_e32 v0, vcc, v4, v0
	s_mul_hi_u32 s1, s16, 52
	v_addc_co_u32_e32 v1, vcc, v5, v1, vcc
	s_add_i32 s0, s1, s0
	s_mul_i32 s1, s16, 52
	global_load_dword v2, v[0:1], off
	v_mov_b32_e32 v3, s0
	v_add_co_u32_e32 v0, vcc, s1, v0
	v_addc_co_u32_e32 v1, vcc, v1, v3, vcc
	global_load_dword v3, v[0:1], off
	global_load_dword v35, v37, s[12:13]
	global_load_dword v33, v37, s[12:13] offset:52
	v_mov_b32_e32 v4, s0
	v_add_co_u32_e32 v0, vcc, s1, v0
	v_addc_co_u32_e32 v1, vcc, v1, v4, vcc
	global_load_dword v4, v[0:1], off
	global_load_dword v32, v37, s[12:13] offset:104
	v_mov_b32_e32 v5, s0
	v_add_co_u32_e32 v0, vcc, s1, v0
	v_addc_co_u32_e32 v1, vcc, v1, v5, vcc
	global_load_dword v5, v[0:1], off
	;; [unrolled: 5-line block ×5, first 2 shown]
	global_load_dword v27, v37, s[12:13] offset:312
	s_mov_b32 s0, 0xaf286bcb
	v_mul_hi_u32 v0, v12, s0
	s_load_dwordx4 s[8:11], s[2:3], 0x0
	s_movk_i32 s0, 0x3a52
	s_movk_i32 s2, 0x3b00
	v_sub_u32_e32 v1, v12, v0
	v_lshrrev_b32_e32 v1, 1, v1
	v_add_u32_e32 v0, v1, v0
	v_lshrrev_b32_e32 v0, 4, v0
	v_mul_lo_u32 v0, v0, 19
	s_movk_i32 s1, 0x3574
	s_mov_b32 s3, 0xb846
	v_add_co_u32_e32 v15, vcc, s12, v37
	v_sub_u32_e32 v0, v12, v0
	v_mul_u32_u24_e32 v0, 0x5b, v0
	v_lshlrev_b32_e32 v36, 2, v0
	v_add_u32_e32 v28, v37, v36
	s_waitcnt vmcnt(13)
	v_lshrrev_b32_e32 v0, 16, v2
	s_waitcnt vmcnt(11)
	v_mul_f16_sdwa v1, v35, v2 dst_sel:DWORD dst_unused:UNUSED_PAD src0_sel:WORD_1 src1_sel:DWORD
	v_mul_f16_sdwa v9, v35, v0 dst_sel:DWORD dst_unused:UNUSED_PAD src0_sel:WORD_1 src1_sel:DWORD
	v_fma_f16 v0, v35, v0, -v1
	v_lshrrev_b32_e32 v1, 16, v3
	s_waitcnt vmcnt(10)
	v_mul_f16_sdwa v10, v33, v3 dst_sel:DWORD dst_unused:UNUSED_PAD src0_sel:WORD_1 src1_sel:DWORD
	v_fma_f16 v2, v35, v2, v9
	v_mul_f16_sdwa v9, v33, v1 dst_sel:DWORD dst_unused:UNUSED_PAD src0_sel:WORD_1 src1_sel:DWORD
	v_fma_f16 v1, v33, v1, -v10
	s_waitcnt vmcnt(9)
	v_lshrrev_b32_e32 v10, 16, v4
	s_waitcnt vmcnt(8)
	v_mul_f16_sdwa v11, v32, v4 dst_sel:DWORD dst_unused:UNUSED_PAD src0_sel:WORD_1 src1_sel:DWORD
	v_pack_b32_f16 v0, v2, v0
	v_fma_f16 v2, v33, v3, v9
	v_mul_f16_sdwa v3, v32, v10 dst_sel:DWORD dst_unused:UNUSED_PAD src0_sel:WORD_1 src1_sel:DWORD
	v_fma_f16 v9, v32, v10, -v11
	s_waitcnt vmcnt(7)
	v_lshrrev_b32_e32 v10, 16, v5
	v_pack_b32_f16 v1, v2, v1
	v_fma_f16 v2, v32, v4, v3
	s_waitcnt vmcnt(6)
	v_mul_f16_sdwa v3, v31, v10 dst_sel:DWORD dst_unused:UNUSED_PAD src0_sel:WORD_1 src1_sel:DWORD
	ds_write2_b32 v28, v0, v1 offset1:13
	v_pack_b32_f16 v0, v2, v9
	v_mul_f16_sdwa v2, v31, v5 dst_sel:DWORD dst_unused:UNUSED_PAD src0_sel:WORD_1 src1_sel:DWORD
	v_fma_f16 v1, v31, v5, v3
	v_fma_f16 v2, v31, v10, -v2
	v_pack_b32_f16 v1, v1, v2
	ds_write2_b32 v28, v0, v1 offset0:26 offset1:39
	s_waitcnt vmcnt(5)
	v_lshrrev_b32_e32 v0, 16, v6
	s_waitcnt vmcnt(4)
	v_mul_f16_sdwa v1, v30, v0 dst_sel:DWORD dst_unused:UNUSED_PAD src0_sel:WORD_1 src1_sel:DWORD
	v_mul_f16_sdwa v2, v30, v6 dst_sel:DWORD dst_unused:UNUSED_PAD src0_sel:WORD_1 src1_sel:DWORD
	v_fma_f16 v1, v30, v6, v1
	v_fma_f16 v0, v30, v0, -v2
	v_pack_b32_f16 v0, v1, v0
	s_waitcnt vmcnt(3)
	v_lshrrev_b32_e32 v1, 16, v7
	s_waitcnt vmcnt(2)
	v_mul_f16_sdwa v2, v29, v1 dst_sel:DWORD dst_unused:UNUSED_PAD src0_sel:WORD_1 src1_sel:DWORD
	v_mul_f16_sdwa v3, v29, v7 dst_sel:DWORD dst_unused:UNUSED_PAD src0_sel:WORD_1 src1_sel:DWORD
	v_fma_f16 v2, v29, v7, v2
	v_fma_f16 v1, v29, v1, -v3
	v_pack_b32_f16 v1, v2, v1
	ds_write2_b32 v28, v0, v1 offset0:52 offset1:65
	s_waitcnt vmcnt(1)
	v_lshrrev_b32_e32 v0, 16, v8
	s_waitcnt vmcnt(0)
	v_mul_f16_sdwa v1, v27, v0 dst_sel:DWORD dst_unused:UNUSED_PAD src0_sel:WORD_1 src1_sel:DWORD
	v_mul_f16_sdwa v2, v27, v8 dst_sel:DWORD dst_unused:UNUSED_PAD src0_sel:WORD_1 src1_sel:DWORD
	v_fma_f16 v1, v27, v8, v1
	v_fma_f16 v0, v27, v0, -v2
	v_pack_b32_f16 v0, v1, v0
	ds_write_b32 v28, v0 offset:312
	s_waitcnt lgkmcnt(0)
	s_barrier
	ds_read2_b32 v[0:1], v28 offset1:13
	ds_read_b32 v6, v28 offset:312
	ds_read2_b32 v[2:3], v28 offset0:26 offset1:39
	ds_read2_b32 v[4:5], v28 offset0:52 offset1:65
	s_waitcnt lgkmcnt(0)
	s_barrier
	v_pk_add_f16 v7, v1, v6
	v_pk_add_f16 v1, v1, v6 neg_lo:[0,1] neg_hi:[0,1]
	v_pk_add_f16 v6, v2, v5
	v_pk_add_f16 v2, v2, v5 neg_lo:[0,1] neg_hi:[0,1]
	;; [unrolled: 2-line block ×3, first 2 shown]
	v_pk_add_f16 v4, v6, v7
	v_pk_add_f16 v9, v3, v2 op_sel:[1,1] op_sel_hi:[0,0]
	v_pk_add_f16 v8, v6, v7 neg_lo:[0,1] neg_hi:[0,1]
	v_pk_add_f16 v7, v7, v5 neg_lo:[0,1] neg_hi:[0,1]
	v_pk_add_f16 v4, v5, v4
	v_pk_add_f16 v5, v5, v6 neg_lo:[0,1] neg_hi:[0,1]
	v_pk_add_f16 v6, v1, v3 op_sel:[1,1] op_sel_hi:[0,0] neg_lo:[0,1] neg_hi:[0,1]
	v_pk_add_f16 v9, v9, v1 op_sel:[0,1] op_sel_hi:[1,0]
	v_pk_add_f16 v1, v2, v1 op_sel:[1,1] op_sel_hi:[0,0] neg_lo:[0,1] neg_hi:[0,1]
	v_pk_add_f16 v13, v4, v0
	v_pk_mul_f16 v0, v7, s0 op_sel_hi:[1,0]
	s_movk_i32 s0, 0x39e0
	v_pk_mul_f16 v1, v1, s2 op_sel_hi:[1,0]
	s_mov_b32 s2, 0xbcab
	v_pk_add_f16 v2, v3, v2 op_sel:[1,1] op_sel_hi:[0,0] neg_lo:[0,1] neg_hi:[0,1]
	v_pk_mul_f16 v3, v8, s0 op_sel_hi:[1,0]
	v_pk_fma_f16 v4, v4, s2, v13 op_sel_hi:[1,0,1]
	s_movk_i32 s2, 0x2b26
	v_pk_fma_f16 v7, v8, s0, v0 op_sel_hi:[1,0,1] neg_lo:[1,0,1] neg_hi:[1,0,1]
	s_movk_i32 s0, 0x370e
	v_pk_fma_f16 v8, v6, s1, v1 op_sel_hi:[1,0,1] neg_lo:[1,0,1] neg_hi:[1,0,1]
	v_pk_fma_f16 v3, v5, s2, v3 op_sel_hi:[1,0,1] neg_lo:[1,0,0] neg_hi:[1,0,0]
	;; [unrolled: 1-line block ×3, first 2 shown]
	v_pk_add_f16 v7, v7, v4
	v_pk_fma_f16 v8, v9, s0, v8 op_sel_hi:[1,0,1]
	v_pk_add_f16 v3, v3, v4
	v_pk_fma_f16 v1, v9, s0, v1 op_sel_hi:[1,0,1]
	v_pk_add_f16 v17, v7, v8
	v_pk_add_f16 v20, v7, v8 neg_lo:[0,1] neg_hi:[0,1]
	v_pk_add_f16 v18, v3, v1 neg_lo:[0,1] neg_hi:[0,1]
	v_pk_add_f16 v19, v3, v1
	v_mul_lo_u16_e32 v1, 7, v34
	v_lshl_add_u32 v38, v1, 2, v36
	v_bfi_b32 v1, s6, v20, v17
	v_bfi_b32 v3, s6, v19, v18
	ds_write2_b32 v38, v3, v1 offset0:4 offset1:5
	v_pk_mul_f16 v1, v6, s1 op_sel_hi:[1,0]
	v_pk_fma_f16 v0, v5, s2, v0 op_sel_hi:[1,0,1]
	v_pk_fma_f16 v1, v2, s3, v1 op_sel_hi:[1,0,1]
	v_pk_add_f16 v0, v0, v4
	v_pk_fma_f16 v1, v9, s0, v1 op_sel_hi:[1,0,1]
	v_pk_add_f16 v14, v0, v1
	v_pk_add_f16 v21, v0, v1 neg_lo:[0,1] neg_hi:[0,1]
	s_load_dwordx2 s[2:3], s[4:5], 0x38
	v_bfi_b32 v2, s6, v17, v20
	v_bfi_b32 v0, s6, v14, v21
	ds_write2_b32 v38, v0, v2 offset0:1 offset1:2
	v_mov_b32_e32 v0, s13
	v_addc_co_u32_e32 v16, vcc, 0, v0, vcc
	v_bfi_b32 v0, s6, v18, v19
	ds_write2_b32 v38, v13, v0 offset1:3
	v_bfi_b32 v0, s6, v21, v14
	v_cmp_gt_u16_e32 vcc, 7, v34
	v_lshrrev_b32_e32 v39, 16, v21
	v_lshrrev_b32_e32 v40, 16, v20
	;; [unrolled: 1-line block ×6, first 2 shown]
	ds_write_b32 v38, v0 offset:24
	s_waitcnt lgkmcnt(0)
	s_barrier
	s_and_saveexec_b64 s[0:1], vcc
	s_cbranch_execz .LBB0_3
; %bb.2:
	ds_read2_b32 v[13:14], v28 offset1:7
	ds_read2_b32 v[17:18], v28 offset0:14 offset1:21
	ds_read2_b32 v[19:20], v28 offset0:28 offset1:35
	;; [unrolled: 1-line block ×5, first 2 shown]
	ds_read_b32 v61, v28 offset:336
	s_waitcnt lgkmcnt(6)
	v_lshrrev_b32_e32 v39, 16, v14
	s_waitcnt lgkmcnt(5)
	v_lshrrev_b32_e32 v40, 16, v17
	v_lshrrev_b32_e32 v41, 16, v18
	s_waitcnt lgkmcnt(4)
	v_lshrrev_b32_e32 v42, 16, v19
	;; [unrolled: 3-line block ×6, first 2 shown]
.LBB0_3:
	s_or_b64 exec, exec, s[0:1]
	v_add_u32_e32 v0, -7, v34
	v_cndmask_b32_e32 v0, v0, v34, vcc
	v_mul_hi_i32_i24_e32 v1, 12, v0
	v_mul_i32_i24_e32 v0, 12, v0
	v_lshlrev_b64 v[0:1], 2, v[0:1]
	v_mov_b32_e32 v2, s15
	v_add_co_u32_e64 v44, s[0:1], s14, v0
	v_addc_co_u32_e64 v45, s[0:1], v2, v1, s[0:1]
	global_load_dwordx4 v[4:7], v[44:45], off
	global_load_dwordx4 v[0:3], v[44:45], off offset:16
	global_load_dwordx4 v[8:11], v[44:45], off offset:32
	s_movk_i32 s0, 0x388b
	s_mov_b32 s1, 0xb5ac
	s_movk_i32 s4, 0x2fb7
	s_mov_b32 s5, 0xbbc4
	s_mov_b32 s6, 0xb9fd
	s_movk_i32 s7, 0x3b15
	s_waitcnt vmcnt(2)
	v_mul_f16_sdwa v74, v14, v4 dst_sel:DWORD dst_unused:UNUSED_PAD src0_sel:DWORD src1_sel:WORD_1
	s_waitcnt vmcnt(1)
	v_mul_f16_sdwa v55, v21, v1 dst_sel:DWORD dst_unused:UNUSED_PAD src0_sel:DWORD src1_sel:WORD_1
	v_mul_f16_sdwa v63, v22, v2 dst_sel:DWORD dst_unused:UNUSED_PAD src0_sel:DWORD src1_sel:WORD_1
	s_waitcnt vmcnt(0)
	v_mul_f16_sdwa v72, v62, v11 dst_sel:DWORD dst_unused:UNUSED_PAD src0_sel:DWORD src1_sel:WORD_1
	v_mul_f16_sdwa v73, v61, v11 dst_sel:DWORD dst_unused:UNUSED_PAD src0_sel:DWORD src1_sel:WORD_1
	;; [unrolled: 1-line block ×7, first 2 shown]
	v_fma_f16 v55, v50, v1, v55
	v_fma_f16 v56, v56, v2, v63
	v_fma_f16 v50, v61, v11, -v72
	v_fma_f16 v61, v62, v11, v73
	v_fma_f16 v63, v39, v4, v74
	v_mul_f16_sdwa v44, v40, v5 dst_sel:DWORD dst_unused:UNUSED_PAD src0_sel:DWORD src1_sel:WORD_1
	v_mul_f16_sdwa v52, v18, v6 dst_sel:DWORD dst_unused:UNUSED_PAD src0_sel:DWORD src1_sel:WORD_1
	;; [unrolled: 1-line block ×6, first 2 shown]
	v_fma_f16 v51, v40, v5, v51
	v_fma_f16 v60, v60, v10, v71
	v_fma_f16 v62, v14, v4, -v75
	v_sub_f16_e32 v14, v63, v61
	v_mul_f16_sdwa v45, v41, v6 dst_sel:DWORD dst_unused:UNUSED_PAD src0_sel:DWORD src1_sel:WORD_1
	v_mul_f16_sdwa v64, v57, v3 dst_sel:DWORD dst_unused:UNUSED_PAD src0_sel:DWORD src1_sel:WORD_1
	;; [unrolled: 1-line block ×3, first 2 shown]
	v_fma_f16 v44, v17, v5, -v44
	v_fma_f16 v21, v21, v1, -v48
	;; [unrolled: 1-line block ×6, first 2 shown]
	v_fma_f16 v52, v41, v6, v52
	v_fma_f16 v59, v59, v9, v70
	v_add_f16_e32 v85, v62, v50
	v_sub_f16_e32 v25, v51, v60
	v_mul_f16_e32 v65, 0xba95, v14
	v_mul_f16_sdwa v46, v42, v7 dst_sel:DWORD dst_unused:UNUSED_PAD src0_sel:DWORD src1_sel:WORD_1
	v_mul_f16_sdwa v53, v19, v7 dst_sel:DWORD dst_unused:UNUSED_PAD src0_sel:DWORD src1_sel:WORD_1
	;; [unrolled: 1-line block ×3, first 2 shown]
	v_fma_f16 v45, v18, v6, -v45
	v_fma_f16 v23, v23, v3, -v64
	v_add_f16_e32 v82, v44, v49
	v_sub_f16_e32 v26, v52, v59
	v_mul_f16_e32 v64, 0xbb7b, v25
	v_mul_f16_e32 v70, 0xbbf1, v14
	v_fma_f16 v17, v85, s0, v65
	v_mul_f16_sdwa v47, v43, v0 dst_sel:DWORD dst_unused:UNUSED_PAD src0_sel:DWORD src1_sel:WORD_1
	v_mul_f16_sdwa v54, v20, v0 dst_sel:DWORD dst_unused:UNUSED_PAD src0_sel:DWORD src1_sel:WORD_1
	v_fma_f16 v46, v19, v7, -v46
	v_fma_f16 v53, v42, v7, v53
	v_fma_f16 v57, v57, v3, v66
	v_fma_f16 v58, v58, v8, v67
	v_add_f16_e32 v79, v45, v48
	v_mul_f16_e32 v68, 0xb3a8, v25
	v_mul_f16_e32 v66, 0xb3a8, v26
	v_fma_f16 v18, v82, s1, v64
	v_fma_f16 v19, v85, s4, v70
	v_add_f16_e32 v17, v17, v13
	v_fma_f16 v47, v20, v0, -v47
	v_fma_f16 v54, v43, v0, v54
	v_sub_f16_e32 v39, v53, v58
	v_mul_f16_e32 v69, 0x3b7b, v26
	v_fma_f16 v20, v82, s5, v68
	v_fma_f16 v40, v79, s5, v66
	v_add_f16_e32 v19, v19, v13
	v_add_f16_e32 v17, v18, v17
	;; [unrolled: 1-line block ×3, first 2 shown]
	v_mul_f16_e32 v67, 0x394e, v39
	v_fma_f16 v41, v79, s1, v69
	v_add_f16_e32 v18, v20, v19
	v_add_f16_e32 v17, v40, v17
	v_mul_f16_e32 v71, 0x3770, v39
	v_sub_f16_e32 v40, v54, v57
	v_fma_f16 v42, v78, s6, v67
	v_add_f16_e32 v18, v41, v18
	v_fma_f16 v19, v78, s7, v71
	v_add_f16_e32 v88, v47, v23
	v_mul_f16_e32 v72, 0x3bf1, v40
	v_add_f16_e32 v17, v42, v17
	v_add_f16_e32 v18, v19, v18
	v_fma_f16 v19, v88, s4, v72
	v_mul_f16_e32 v73, 0xba95, v40
	v_sub_f16_e32 v145, v55, v56
	v_add_f16_e32 v17, v19, v17
	v_fma_f16 v19, v88, s0, v73
	v_add_f16_e32 v100, v21, v22
	v_mul_f16_e32 v74, 0x3770, v145
	v_add_f16_e32 v19, v19, v18
	v_fma_f16 v18, v100, s7, v74
	v_mul_f16_e32 v75, 0xb94e, v145
	v_add_f16_e32 v18, v18, v17
	v_fma_f16 v17, v100, s6, v75
	v_mul_f16_e32 v83, 0xbb7b, v14
	v_add_f16_e32 v17, v17, v19
	v_fma_f16 v19, v85, s1, v83
	v_mul_f16_e32 v84, 0x394e, v25
	v_add_f16_e32 v19, v19, v13
	v_fma_f16 v20, v82, s6, v84
	v_mul_f16_e32 v94, 0xb94e, v14
	v_add_f16_e32 v19, v20, v19
	v_fma_f16 v20, v85, s6, v94
	v_mul_f16_e32 v95, 0x3bf1, v25
	v_add_f16_e32 v20, v20, v13
	v_fma_f16 v41, v82, s4, v95
	v_mul_f16_e32 v86, 0x3770, v26
	v_add_f16_e32 v20, v41, v20
	v_fma_f16 v41, v79, s7, v86
	v_mul_f16_e32 v97, 0xba95, v26
	v_add_f16_e32 v19, v41, v19
	v_fma_f16 v41, v79, s0, v97
	v_mul_f16_e32 v87, 0xbbf1, v39
	v_add_f16_e32 v20, v41, v20
	v_fma_f16 v41, v78, s4, v87
	v_mul_f16_e32 v98, 0x33a8, v39
	v_add_f16_e32 v19, v41, v19
	v_fma_f16 v41, v78, s5, v98
	v_mul_f16_e32 v89, 0x33a8, v40
	v_add_f16_e32 v20, v41, v20
	v_fma_f16 v41, v88, s5, v89
	v_mul_f16_e32 v101, 0x3770, v40
	v_add_f16_e32 v19, v41, v19
	v_fma_f16 v41, v88, s7, v101
	v_mul_f16_e32 v92, 0x3a95, v145
	v_add_f16_e32 v41, v41, v20
	v_fma_f16 v20, v100, s0, v92
	v_mul_f16_e32 v103, 0xbb7b, v145
	v_add_f16_e32 v20, v20, v19
	v_fma_f16 v19, v100, s1, v103
	v_mul_f16_e32 v76, 0xb770, v14
	v_add_f16_e32 v19, v19, v41
	v_fma_f16 v41, v85, s7, v76
	v_mul_f16_e32 v77, 0xba95, v25
	v_add_f16_e32 v41, v41, v13
	v_fma_f16 v42, v82, s0, v77
	v_add_f16_e32 v41, v42, v41
	v_sub_f16_e32 v42, v62, v50
	v_add_f16_e32 v133, v63, v61
	v_mul_f16_e32 v80, 0xb770, v42
	v_sub_f16_e32 v90, v44, v49
	v_fma_f16 v43, v133, s7, -v80
	v_add_f16_e32 v130, v51, v60
	v_mul_f16_e32 v81, 0xba95, v90
	v_add_f16_sdwa v43, v43, v13 dst_sel:DWORD dst_unused:UNUSED_PAD src0_sel:DWORD src1_sel:WORD_1
	v_fma_f16 v91, v130, s0, -v81
	v_add_f16_e32 v43, v91, v43
	v_mul_f16_e32 v91, 0xba95, v42
	v_fma_f16 v93, v133, s0, -v91
	v_add_f16_sdwa v96, v93, v13 dst_sel:DWORD dst_unused:UNUSED_PAD src0_sel:DWORD src1_sel:WORD_1
	v_mul_f16_e32 v93, 0xbb7b, v90
	v_fma_f16 v99, v130, s1, -v93
	v_mul_f16_e32 v102, 0xbbf1, v42
	v_mul_f16_e32 v120, 0xb3a8, v14
	v_add_f16_e32 v99, v99, v96
	v_fma_f16 v96, v133, s4, -v102
	v_mul_f16_e32 v104, 0xb3a8, v90
	v_fma_f16 v14, v85, s5, v120
	v_mul_f16_e32 v121, 0x3770, v25
	v_add_f16_sdwa v96, v96, v13 dst_sel:DWORD dst_unused:UNUSED_PAD src0_sel:DWORD src1_sel:WORD_1
	v_fma_f16 v105, v130, s5, -v104
	v_mul_f16_e32 v108, 0xbb7b, v42
	v_add_f16_e32 v14, v14, v13
	v_fma_f16 v25, v82, s7, v121
	v_mul_f16_e32 v126, 0xb3a8, v42
	v_add_f16_e32 v105, v105, v96
	v_fma_f16 v96, v133, s1, -v108
	v_mul_f16_e32 v109, 0x394e, v90
	v_add_f16_e32 v14, v25, v14
	v_fma_f16 v25, v133, s5, -v126
	v_mul_f16_e32 v127, 0x3770, v90
	v_add_f16_sdwa v96, v96, v13 dst_sel:DWORD dst_unused:UNUSED_PAD src0_sel:DWORD src1_sel:WORD_1
	v_fma_f16 v106, v130, s6, -v109
	v_mul_f16_e32 v116, 0xb94e, v42
	v_mul_f16_e32 v117, 0x3bf1, v90
	v_add_f16_sdwa v25, v25, v13 dst_sel:DWORD dst_unused:UNUSED_PAD src0_sel:DWORD src1_sel:WORD_1
	v_fma_f16 v42, v130, s7, -v127
	v_mul_f16_e32 v90, 0xbbf1, v26
	v_add_f16_e32 v107, v106, v96
	v_fma_f16 v96, v133, s6, -v116
	v_add_f16_e32 v25, v42, v25
	v_fma_f16 v42, v79, s4, v90
	v_add_f16_sdwa v96, v96, v13 dst_sel:DWORD dst_unused:UNUSED_PAD src0_sel:DWORD src1_sel:WORD_1
	v_fma_f16 v106, v130, s4, -v117
	v_add_f16_e32 v41, v42, v41
	v_sub_f16_e32 v42, v45, v48
	v_add_f16_e32 v110, v106, v96
	v_add_f16_e32 v138, v52, v59
	v_mul_f16_e32 v96, 0xbbf1, v42
	v_fma_f16 v106, v138, s4, -v96
	v_add_f16_e32 v43, v106, v43
	v_mul_f16_e32 v106, 0xb3a8, v42
	v_fma_f16 v111, v138, s5, -v106
	v_mul_f16_e32 v112, 0x3b7b, v42
	v_add_f16_e32 v113, v111, v99
	v_fma_f16 v99, v138, s1, -v112
	v_mul_f16_e32 v119, 0x3770, v42
	v_add_f16_e32 v114, v99, v105
	v_fma_f16 v99, v138, s7, -v119
	v_mul_f16_e32 v125, 0xba95, v42
	v_mul_f16_e32 v128, 0xb94e, v26
	v_add_f16_e32 v107, v99, v107
	v_fma_f16 v99, v138, s0, -v125
	v_fma_f16 v26, v79, s6, v128
	v_mul_f16_e32 v134, 0xb94e, v42
	v_add_f16_e32 v110, v99, v110
	v_add_f16_e32 v14, v26, v14
	v_fma_f16 v26, v138, s6, -v134
	v_mul_f16_e32 v99, 0xbb7b, v39
	v_add_f16_e32 v25, v26, v25
	v_fma_f16 v26, v78, s1, v99
	v_add_f16_e32 v26, v26, v41
	v_sub_f16_e32 v41, v46, v24
	v_add_f16_e32 v141, v53, v58
	v_mul_f16_e32 v105, 0xbb7b, v41
	v_fma_f16 v42, v141, s1, -v105
	v_mul_f16_e32 v111, 0x394e, v41
	v_add_f16_e32 v42, v42, v43
	v_fma_f16 v43, v141, s6, -v111
	v_mul_f16_e32 v118, 0x3770, v41
	v_add_f16_e32 v43, v43, v113
	;; [unrolled: 3-line block ×3, first 2 shown]
	v_fma_f16 v114, v141, s4, -v124
	v_mul_f16_e32 v132, 0x33a8, v41
	v_mul_f16_e32 v135, 0x3a95, v39
	v_add_f16_e32 v114, v114, v107
	v_fma_f16 v107, v141, s5, -v132
	v_fma_f16 v39, v78, s0, v135
	v_mul_f16_e32 v139, 0x3a95, v41
	v_add_f16_e32 v122, v107, v110
	v_add_f16_e32 v14, v39, v14
	v_fma_f16 v39, v141, s0, -v139
	v_mul_f16_e32 v107, 0xb94e, v40
	v_add_f16_e32 v25, v39, v25
	v_fma_f16 v39, v88, s6, v107
	v_add_f16_e32 v26, v39, v26
	v_sub_f16_e32 v39, v47, v23
	v_add_f16_e32 v144, v54, v57
	v_mul_f16_e32 v110, 0xb94e, v39
	v_fma_f16 v41, v144, s6, -v110
	v_mul_f16_e32 v115, 0x3bf1, v39
	v_add_f16_e32 v41, v41, v42
	v_fma_f16 v42, v144, s4, -v115
	v_mul_f16_e32 v123, 0xba95, v39
	v_add_f16_e32 v129, v42, v43
	v_fma_f16 v42, v144, s0, -v123
	v_mul_f16_e32 v131, 0x33a8, v39
	v_mul_f16_e32 v143, 0xbb7b, v39
	v_add_f16_e32 v136, v42, v113
	v_fma_f16 v42, v144, s5, -v131
	v_mul_f16_e32 v137, 0x3770, v39
	v_fma_f16 v39, v144, s1, -v143
	v_mul_f16_e32 v113, 0xb3a8, v145
	v_sub_f16_e32 v148, v21, v22
	v_add_f16_e32 v142, v42, v114
	v_fma_f16 v42, v144, s7, -v137
	v_add_f16_e32 v25, v39, v25
	v_fma_f16 v39, v100, s5, v113
	v_add_f16_e32 v146, v55, v56
	v_mul_f16_e32 v114, 0xb3a8, v148
	v_add_f16_e32 v147, v42, v122
	v_add_f16_e32 v42, v39, v26
	v_fma_f16 v26, v146, s5, -v114
	v_mul_f16_e32 v122, 0x3770, v148
	v_add_f16_e32 v43, v26, v41
	v_fma_f16 v26, v146, s7, -v122
	v_mul_f16_e32 v140, 0xbb7b, v40
	v_add_f16_e32 v41, v26, v129
	v_mul_f16_e32 v129, 0xb94e, v148
	v_fma_f16 v40, v88, s1, v140
	v_fma_f16 v26, v146, s6, -v129
	v_add_f16_e32 v14, v40, v14
	v_add_f16_e32 v40, v26, v136
	v_mul_f16_e32 v136, 0x3a95, v148
	v_fma_f16 v26, v146, s0, -v136
	v_add_f16_e32 v39, v26, v142
	v_mul_f16_e32 v142, 0xbb7b, v148
	v_fma_f16 v26, v146, s1, -v142
	;; [unrolled: 3-line block ×3, first 2 shown]
	v_mul_f16_e32 v145, 0x3bf1, v145
	v_add_f16_e32 v25, v148, v25
	v_fma_f16 v148, v100, s4, v145
	v_add_f16_e32 v14, v148, v14
	s_and_saveexec_b64 s[0:1], vcc
	s_cbranch_execz .LBB0_5
; %bb.4:
	v_mul_f16_e32 v148, 0x3b15, v85
	v_mul_f16_e32 v150, 0x388b, v85
	;; [unrolled: 1-line block ×12, first 2 shown]
	v_sub_f16_e32 v85, v85, v120
	v_mul_f16_e32 v168, 0x2fb7, v79
	v_mul_f16_e32 v170, 0xbbc4, v79
	v_mul_f16_e32 v172, 0xb5ac, v79
	v_mul_f16_e32 v174, 0x3b15, v79
	v_mul_f16_e32 v176, 0x388b, v79
	v_mul_f16_e32 v79, 0xb9fd, v79
	v_add_f16_e32 v85, v85, v13
	v_sub_f16_e32 v82, v82, v121
	v_mul_f16_e32 v178, 0xb5ac, v78
	v_mul_f16_e32 v180, 0xb9fd, v78
	v_mul_f16_e32 v182, 0x3b15, v78
	v_mul_f16_e32 v184, 0x2fb7, v78
	v_mul_f16_e32 v186, 0xbbc4, v78
	v_mul_f16_e32 v78, 0x388b, v78
	v_add_f16_e32 v82, v82, v85
	;; [unrolled: 8-line block ×4, first 2 shown]
	v_sub_f16_e32 v79, v88, v140
	v_mul_f16_e32 v157, 0xb9fd, v133
	v_add_f16_e32 v78, v79, v78
	v_sub_f16_e32 v79, v100, v145
	v_mul_f16_e32 v167, 0x2fb7, v130
	v_add_f16_e32 v78, v79, v78
	v_add_f16_e32 v79, v116, v157
	v_sub_f16_e32 v65, v150, v65
	v_mul_f16_e32 v177, 0x388b, v138
	v_add_f16_sdwa v79, v79, v13 dst_sel:DWORD dst_unused:UNUSED_PAD src0_sel:DWORD src1_sel:WORD_1
	v_add_f16_e32 v82, v117, v167
	v_add_f16_e32 v65, v65, v13
	v_sub_f16_e32 v64, v160, v64
	v_mul_f16_e32 v187, 0xbbc4, v141
	v_add_f16_e32 v79, v82, v79
	v_add_f16_e32 v82, v125, v177
	v_add_f16_e32 v64, v64, v65
	v_sub_f16_e32 v65, v170, v66
	v_mul_f16_e32 v197, 0x3b15, v144
	v_add_f16_e32 v79, v82, v79
	;; [unrolled: 5-line block ×5, first 2 shown]
	v_sub_f16_e32 v82, v156, v94
	v_sub_f16_e32 v83, v154, v83
	;; [unrolled: 1-line block ×3, first 2 shown]
	v_add_f16_e32 v64, v65, v64
	v_add_f16_e32 v65, v80, v149
	v_mul_f16_e32 v169, 0x2fb7, v138
	v_add_f16_e32 v82, v82, v13
	v_sub_f16_e32 v85, v166, v95
	v_add_f16_e32 v83, v83, v13
	v_sub_f16_e32 v84, v164, v84
	;; [unrolled: 2-line block ×3, first 2 shown]
	v_add_f16_sdwa v65, v65, v13 dst_sel:DWORD dst_unused:UNUSED_PAD src0_sel:DWORD src1_sel:WORD_1
	v_add_f16_e32 v66, v81, v159
	v_mul_f16_e32 v179, 0xb5ac, v141
	v_add_f16_e32 v82, v85, v82
	v_sub_f16_e32 v85, v176, v97
	v_add_f16_e32 v83, v84, v83
	v_sub_f16_e32 v84, v174, v86
	v_add_f16_e32 v68, v68, v70
	v_sub_f16_e32 v69, v172, v69
	v_add_f16_e32 v65, v66, v65
	v_add_f16_e32 v66, v96, v169
	v_mul_f16_e32 v189, 0xb9fd, v144
	v_add_f16_e32 v82, v85, v82
	v_sub_f16_e32 v85, v186, v98
	v_add_f16_e32 v83, v84, v83
	v_sub_f16_e32 v84, v184, v87
	v_add_f16_e32 v68, v69, v68
	v_sub_f16_e32 v69, v182, v71
	v_add_f16_e32 v65, v66, v65
	v_add_f16_e32 v66, v105, v179
	v_mul_f16_e32 v199, 0xbbc4, v146
	v_add_f16_e32 v82, v85, v82
	v_sub_f16_e32 v85, v196, v101
	v_add_f16_e32 v83, v84, v83
	v_sub_f16_e32 v84, v194, v89
	v_add_f16_e32 v68, v69, v68
	v_sub_f16_e32 v69, v192, v73
	v_add_f16_e32 v65, v66, v65
	v_add_f16_e32 v66, v110, v189
	v_mul_f16_e32 v151, 0x388b, v133
	v_mul_f16_e32 v153, 0x2fb7, v133
	;; [unrolled: 1-line block ×4, first 2 shown]
	v_add_f16_e32 v82, v85, v82
	v_sub_f16_e32 v85, v206, v103
	v_add_f16_e32 v83, v84, v83
	v_sub_f16_e32 v84, v204, v92
	;; [unrolled: 2-line block ×3, first 2 shown]
	v_add_f16_e32 v65, v66, v65
	v_add_f16_e32 v66, v114, v199
	v_add_f16_e32 v126, v126, v133
	v_add_f16_e32 v82, v85, v82
	v_add_f16_e32 v85, v108, v155
	v_add_f16_e32 v83, v84, v83
	v_add_f16_e32 v84, v102, v153
	v_add_f16_e32 v68, v69, v68
	v_add_f16_e32 v69, v91, v151
	v_add_f16_e32 v65, v66, v65
	v_sub_f16_e32 v66, v148, v76
	v_add_f16_sdwa v126, v126, v13 dst_sel:DWORD dst_unused:UNUSED_PAD src0_sel:DWORD src1_sel:WORD_1
	v_add_f16_sdwa v85, v85, v13 dst_sel:DWORD dst_unused:UNUSED_PAD src0_sel:DWORD src1_sel:WORD_1
	;; [unrolled: 1-line block ×4, first 2 shown]
	v_add_f16_e32 v66, v66, v13
	v_add_f16_sdwa v63, v63, v13 dst_sel:DWORD dst_unused:UNUSED_PAD src0_sel:DWORD src1_sel:WORD_1
	v_add_f16_e32 v13, v62, v13
	v_add_f16_e32 v51, v63, v51
	;; [unrolled: 1-line block ×11, first 2 shown]
	v_mul_f16_e32 v161, 0xb5ac, v130
	v_add_f16_e32 v51, v51, v56
	v_add_f16_e32 v13, v13, v22
	v_mul_f16_e32 v163, 0xbbc4, v130
	v_mul_f16_e32 v165, 0xb9fd, v130
	;; [unrolled: 1-line block ×3, first 2 shown]
	v_add_f16_e32 v70, v93, v161
	v_sub_f16_e32 v67, v158, v77
	v_add_f16_e32 v51, v51, v57
	v_add_f16_e32 v13, v13, v23
	v_mul_f16_e32 v130, 0x3b15, v130
	v_mul_f16_e32 v173, 0xb5ac, v138
	;; [unrolled: 1-line block ×4, first 2 shown]
	v_add_f16_e32 v88, v109, v165
	v_add_f16_e32 v86, v104, v163
	;; [unrolled: 1-line block ×5, first 2 shown]
	v_sub_f16_e32 v67, v168, v90
	v_add_f16_e32 v51, v51, v58
	v_add_f16_e32 v13, v13, v24
	v_mul_f16_e32 v138, 0xb9fd, v138
	v_mul_f16_e32 v183, 0x3b15, v141
	v_mul_f16_e32 v185, 0x2fb7, v141
	v_mul_f16_e32 v191, 0x2fb7, v144
	v_add_f16_e32 v127, v127, v130
	v_add_f16_e32 v85, v88, v85
	;; [unrolled: 1-line block ×8, first 2 shown]
	v_sub_f16_e32 v67, v178, v99
	v_add_f16_e32 v51, v51, v59
	v_add_f16_e32 v13, v13, v48
	v_mul_f16_e32 v141, 0x388b, v141
	v_mul_f16_e32 v193, 0x388b, v144
	;; [unrolled: 1-line block ×4, first 2 shown]
	v_add_f16_e32 v126, v127, v126
	v_add_f16_e32 v127, v134, v138
	;; [unrolled: 1-line block ×9, first 2 shown]
	v_sub_f16_e32 v67, v188, v107
	v_add_f16_e32 v51, v51, v60
	v_add_f16_e32 v13, v13, v49
	v_mul_f16_e32 v144, 0xb5ac, v144
	v_mul_f16_e32 v203, 0xb9fd, v146
	v_mul_f16_e32 v205, 0x388b, v146
	v_add_f16_e32 v126, v127, v126
	v_add_f16_e32 v127, v139, v141
	;; [unrolled: 1-line block ×9, first 2 shown]
	v_sub_f16_e32 v67, v198, v113
	v_add_f16_sdwa v51, v51, v61 dst_sel:WORD_1 dst_unused:UNUSED_PAD src0_sel:DWORD src1_sel:DWORD
	v_add_f16_e32 v13, v13, v50
	v_mul_f16_e32 v146, 0x2fb7, v146
	v_add_f16_e32 v126, v127, v126
	v_add_f16_e32 v127, v143, v144
	;; [unrolled: 1-line block ×8, first 2 shown]
	v_or_b32_e32 v13, v51, v13
	v_add_f16_e32 v126, v127, v126
	v_add_f16_e32 v127, v147, v146
	;; [unrolled: 1-line block ×4, first 2 shown]
	ds_write_b32 v28, v13
	v_lshl_add_u32 v13, v34, 2, v36
	v_pack_b32_f16 v21, v66, v65
	v_pack_b32_f16 v22, v64, v69
	v_add_f16_e32 v126, v127, v126
	ds_write2_b32 v13, v21, v22 offset0:7 offset1:14
	v_pack_b32_f16 v21, v68, v84
	v_pack_b32_f16 v22, v83, v85
	ds_write2_b32 v13, v21, v22 offset0:21 offset1:28
	v_pack_b32_f16 v21, v82, v79
	v_pack_b32_f16 v22, v78, v126
	s_mov_b32 s4, 0x5040100
	ds_write2_b32 v13, v21, v22 offset0:35 offset1:42
	v_perm_b32 v21, v25, v14, s4
	v_perm_b32 v22, v26, v19, s4
	ds_write2_b32 v13, v21, v22 offset0:49 offset1:56
	v_perm_b32 v21, v39, v20, s4
	v_perm_b32 v22, v40, v17, s4
	;; [unrolled: 3-line block ×3, first 2 shown]
	ds_write2_b32 v13, v21, v22 offset0:77 offset1:84
.LBB0_5:
	s_or_b64 exec, exec, s[0:1]
	s_waitcnt lgkmcnt(0)
	s_barrier
	global_load_dword v13, v[15:16], off offset:364
	s_add_u32 s0, s12, 0x16c
	s_addc_u32 s1, s13, 0
	global_load_dword v21, v37, s[0:1] offset:52
	global_load_dword v22, v37, s[0:1] offset:312
	;; [unrolled: 1-line block ×6, first 2 shown]
	ds_read2_b32 v[15:16], v28 offset1:13
	ds_read_b32 v37, v28 offset:312
	s_movk_i32 s0, 0x3a52
	s_movk_i32 s1, 0x39e0
	s_mov_b32 s5, 0xbb00
	s_waitcnt lgkmcnt(1)
	v_lshrrev_b32_e32 v46, 16, v15
	v_lshrrev_b32_e32 v47, 16, v16
	s_waitcnt lgkmcnt(0)
	v_lshrrev_b32_e32 v48, 16, v37
	s_mov_b32 s4, 0xb574
	s_mov_b32 s6, 0xbcab
	;; [unrolled: 1-line block ×4, first 2 shown]
	s_waitcnt vmcnt(6)
	v_mul_f16_sdwa v49, v46, v13 dst_sel:DWORD dst_unused:UNUSED_PAD src0_sel:DWORD src1_sel:WORD_1
	v_mul_f16_sdwa v50, v15, v13 dst_sel:DWORD dst_unused:UNUSED_PAD src0_sel:DWORD src1_sel:WORD_1
	v_fma_f16 v15, v15, v13, -v49
	v_fma_f16 v13, v46, v13, v50
	v_pack_b32_f16 v13, v15, v13
	s_waitcnt vmcnt(5)
	v_mul_f16_sdwa v15, v47, v21 dst_sel:DWORD dst_unused:UNUSED_PAD src0_sel:DWORD src1_sel:WORD_1
	v_mul_f16_sdwa v46, v16, v21 dst_sel:DWORD dst_unused:UNUSED_PAD src0_sel:DWORD src1_sel:WORD_1
	s_waitcnt vmcnt(4)
	v_mul_f16_sdwa v49, v48, v22 dst_sel:DWORD dst_unused:UNUSED_PAD src0_sel:DWORD src1_sel:WORD_1
	v_mul_f16_sdwa v50, v37, v22 dst_sel:DWORD dst_unused:UNUSED_PAD src0_sel:DWORD src1_sel:WORD_1
	ds_write_b32 v28, v13
	v_fma_f16 v13, v16, v21, -v15
	v_fma_f16 v21, v47, v21, v46
	v_fma_f16 v37, v37, v22, -v49
	ds_read2_b32 v[15:16], v28 offset0:26 offset1:39
	v_fma_f16 v46, v48, v22, v50
	v_pack_b32_f16 v13, v13, v21
	ds_read2_b32 v[21:22], v28 offset0:52 offset1:65
	v_pack_b32_f16 v37, v37, v46
	s_waitcnt lgkmcnt(1)
	v_lshrrev_b32_e32 v46, 16, v15
	s_waitcnt vmcnt(3)
	v_mul_f16_sdwa v47, v15, v23 dst_sel:DWORD dst_unused:UNUSED_PAD src0_sel:DWORD src1_sel:WORD_1
	v_lshrrev_b32_e32 v48, 16, v16
	s_waitcnt vmcnt(2)
	v_mul_f16_sdwa v49, v16, v24 dst_sel:DWORD dst_unused:UNUSED_PAD src0_sel:DWORD src1_sel:WORD_1
	s_waitcnt lgkmcnt(0)
	v_lshrrev_b32_e32 v50, 16, v21
	s_waitcnt vmcnt(1)
	v_mul_f16_sdwa v51, v21, v44 dst_sel:DWORD dst_unused:UNUSED_PAD src0_sel:DWORD src1_sel:WORD_1
	v_lshrrev_b32_e32 v52, 16, v22
	s_waitcnt vmcnt(0)
	v_mul_f16_sdwa v53, v22, v45 dst_sel:DWORD dst_unused:UNUSED_PAD src0_sel:DWORD src1_sel:WORD_1
	v_mul_f16_sdwa v54, v46, v23 dst_sel:DWORD dst_unused:UNUSED_PAD src0_sel:DWORD src1_sel:WORD_1
	v_fma_f16 v46, v46, v23, v47
	v_mul_f16_sdwa v47, v48, v24 dst_sel:DWORD dst_unused:UNUSED_PAD src0_sel:DWORD src1_sel:WORD_1
	v_fma_f16 v48, v48, v24, v49
	;; [unrolled: 2-line block ×4, first 2 shown]
	v_fma_f16 v15, v15, v23, -v54
	v_fma_f16 v16, v16, v24, -v47
	;; [unrolled: 1-line block ×4, first 2 shown]
	v_pack_b32_f16 v15, v15, v46
	v_pack_b32_f16 v16, v16, v48
	;; [unrolled: 1-line block ×4, first 2 shown]
	ds_write2_b32 v28, v13, v15 offset0:13 offset1:26
	ds_write2_b32 v28, v16, v21 offset0:39 offset1:52
	ds_write2_b32 v28, v22, v37 offset0:65 offset1:78
	s_waitcnt lgkmcnt(0)
	s_barrier
	ds_read2_b32 v[15:16], v28 offset1:13
	ds_read2_b32 v[21:22], v28 offset0:26 offset1:39
	ds_read_b32 v13, v28 offset:312
	ds_read2_b32 v[23:24], v28 offset0:52 offset1:65
	s_waitcnt lgkmcnt(0)
	s_barrier
	v_pk_add_f16 v37, v16, v13
	v_pk_add_f16 v13, v16, v13 neg_lo:[0,1] neg_hi:[0,1]
	v_pk_add_f16 v16, v21, v24
	v_pk_add_f16 v21, v21, v24 neg_lo:[0,1] neg_hi:[0,1]
	;; [unrolled: 2-line block ×4, first 2 shown]
	v_pk_add_f16 v37, v37, v24 neg_lo:[0,1] neg_hi:[0,1]
	v_pk_add_f16 v45, v44, v21 op_sel:[1,1] op_sel_hi:[0,0]
	v_pk_add_f16 v47, v21, v13 op_sel:[1,1] op_sel_hi:[0,0] neg_lo:[0,1] neg_hi:[0,1]
	v_pk_add_f16 v22, v24, v22
	v_pk_mul_f16 v37, v37, s0 op_sel_hi:[1,0]
	v_pk_add_f16 v46, v13, v44 op_sel:[1,1] op_sel_hi:[0,0] neg_lo:[0,1] neg_hi:[0,1]
	v_pk_add_f16 v13, v45, v13 op_sel:[0,1] op_sel_hi:[1,0]
	v_pk_mul_f16 v45, v23, s1 op_sel_hi:[1,0]
	v_pk_mul_f16 v47, v47, s5 op_sel_hi:[1,0]
	v_pk_add_f16 v15, v22, v15
	v_pk_fma_f16 v23, v23, s1, v37 op_sel_hi:[1,0,1] neg_lo:[1,0,1] neg_hi:[1,0,1]
	v_pk_add_f16 v16, v24, v16 neg_lo:[0,1] neg_hi:[0,1]
	v_pk_add_f16 v44, v44, v21 op_sel:[1,1] op_sel_hi:[0,0] neg_lo:[0,1] neg_hi:[0,1]
	s_movk_i32 s0, 0x2b26
	s_movk_i32 s1, 0x3846
	v_pk_mul_f16 v48, v46, s4 op_sel_hi:[1,0]
	v_pk_fma_f16 v49, v22, s6, v15 op_sel_hi:[1,0,1]
	v_pk_fma_f16 v21, v16, s0, v45 op_sel_hi:[1,0,1] neg_lo:[1,0,0] neg_hi:[1,0,0]
	v_pk_fma_f16 v24, v44, s1, v47 op_sel_hi:[1,0,1] neg_lo:[1,0,0] neg_hi:[1,0,0]
	;; [unrolled: 1-line block ×3, first 2 shown]
	v_pk_add_f16 v21, v21, v49
	v_pk_fma_f16 v45, v13, s7, v24 op_sel_hi:[1,0,1]
	v_pk_fma_f16 v16, v16, s0, v37 op_sel_hi:[1,0,1]
	;; [unrolled: 1-line block ×4, first 2 shown]
	v_pk_add_f16 v46, v23, v49
	v_pk_add_f16 v24, v21, v45 neg_lo:[0,1] neg_hi:[0,1]
	v_pk_add_f16 v21, v21, v45
	v_pk_add_f16 v44, v16, v49
	v_pk_fma_f16 v13, v13, s7, v37 op_sel_hi:[1,0,1]
	v_pk_add_f16 v23, v46, v22
	v_pk_add_f16 v22, v46, v22 neg_lo:[0,1] neg_hi:[0,1]
	v_bfi_b32 v45, s12, v24, v21
	v_pk_add_f16 v16, v44, v13
	v_pk_add_f16 v13, v44, v13 neg_lo:[0,1] neg_hi:[0,1]
	v_bfi_b32 v46, s12, v23, v22
	ds_write2_b32 v38, v15, v45 offset1:3
	v_bfi_b32 v45, s12, v22, v23
	v_bfi_b32 v47, s12, v21, v24
	;; [unrolled: 1-line block ×4, first 2 shown]
	ds_write2_b32 v38, v47, v45 offset0:4 offset1:5
	v_lshrrev_b32_e32 v47, 16, v13
	ds_write2_b32 v38, v44, v46 offset0:1 offset1:2
	ds_write_b32 v38, v37 offset:24
	v_lshrrev_b32_e32 v46, 16, v22
	v_lshrrev_b32_e32 v45, 16, v21
	;; [unrolled: 1-line block ×5, first 2 shown]
	s_waitcnt lgkmcnt(0)
	s_barrier
	s_and_saveexec_b64 s[0:1], vcc
	s_cbranch_execz .LBB0_7
; %bb.6:
	ds_read2_b32 v[15:16], v28 offset1:7
	ds_read2_b32 v[23:24], v28 offset0:14 offset1:21
	ds_read2_b32 v[21:22], v28 offset0:28 offset1:35
	;; [unrolled: 1-line block ×5, first 2 shown]
	ds_read_b32 v42, v28 offset:336
	s_waitcnt lgkmcnt(6)
	v_lshrrev_b32_e32 v47, 16, v16
	s_waitcnt lgkmcnt(5)
	v_lshrrev_b32_e32 v46, 16, v23
	v_lshrrev_b32_e32 v45, 16, v24
	s_waitcnt lgkmcnt(4)
	v_lshrrev_b32_e32 v44, 16, v21
	;; [unrolled: 3-line block ×6, first 2 shown]
.LBB0_7:
	s_or_b64 exec, exec, s[0:1]
	s_and_saveexec_b64 s[0:1], vcc
	s_cbranch_execz .LBB0_9
; %bb.8:
	v_mul_f16_sdwa v49, v4, v16 dst_sel:DWORD dst_unused:UNUSED_PAD src0_sel:WORD_1 src1_sel:DWORD
	v_fma_f16 v49, v4, v47, -v49
	v_mul_f16_sdwa v47, v4, v47 dst_sel:DWORD dst_unused:UNUSED_PAD src0_sel:WORD_1 src1_sel:DWORD
	v_mul_f16_sdwa v48, v11, v42 dst_sel:DWORD dst_unused:UNUSED_PAD src0_sel:WORD_1 src1_sel:DWORD
	v_fma_f16 v4, v4, v16, v47
	v_mul_f16_sdwa v47, v5, v23 dst_sel:DWORD dst_unused:UNUSED_PAD src0_sel:WORD_1 src1_sel:DWORD
	v_fma_f16 v48, v11, v43, -v48
	v_mul_f16_sdwa v16, v11, v43 dst_sel:DWORD dst_unused:UNUSED_PAD src0_sel:WORD_1 src1_sel:DWORD
	v_mul_f16_sdwa v43, v10, v18 dst_sel:DWORD dst_unused:UNUSED_PAD src0_sel:WORD_1 src1_sel:DWORD
	v_fma_f16 v47, v5, v46, -v47
	v_mul_f16_sdwa v46, v5, v46 dst_sel:DWORD dst_unused:UNUSED_PAD src0_sel:WORD_1 src1_sel:DWORD
	v_add_f16_e32 v50, v48, v49
	v_fma_f16 v11, v11, v42, v16
	v_fma_f16 v43, v10, v41, -v43
	v_fma_f16 v5, v5, v23, v46
	v_mul_f16_sdwa v23, v10, v41 dst_sel:DWORD dst_unused:UNUSED_PAD src0_sel:WORD_1 src1_sel:DWORD
	v_mul_f16_e32 v51, 0xbbc4, v50
	v_sub_f16_e32 v16, v4, v11
	s_movk_i32 s17, 0x33a8
	v_add_f16_e32 v52, v43, v47
	v_fma_f16 v10, v10, v18, v23
	v_fma_f16 v42, v16, s17, v51
	v_mul_f16_e32 v53, 0x3b15, v52
	v_sub_f16_e32 v18, v5, v10
	s_mov_b32 s7, 0xb770
	v_add_f16_sdwa v42, v42, v15 dst_sel:DWORD dst_unused:UNUSED_PAD src0_sel:DWORD src1_sel:WORD_1
	v_fma_f16 v23, v18, s7, v53
	v_add_f16_e32 v23, v23, v42
	v_mul_f16_sdwa v42, v6, v24 dst_sel:DWORD dst_unused:UNUSED_PAD src0_sel:WORD_1 src1_sel:DWORD
	v_mul_f16_sdwa v41, v9, v17 dst_sel:DWORD dst_unused:UNUSED_PAD src0_sel:WORD_1 src1_sel:DWORD
	v_fma_f16 v42, v6, v45, -v42
	v_mul_f16_sdwa v45, v6, v45 dst_sel:DWORD dst_unused:UNUSED_PAD src0_sel:WORD_1 src1_sel:DWORD
	v_fma_f16 v41, v9, v40, -v41
	v_fma_f16 v6, v6, v24, v45
	v_mul_f16_sdwa v24, v9, v40 dst_sel:DWORD dst_unused:UNUSED_PAD src0_sel:WORD_1 src1_sel:DWORD
	v_add_f16_e32 v46, v41, v42
	v_fma_f16 v9, v9, v17, v24
	v_mul_f16_e32 v54, 0xb9fd, v46
	v_sub_f16_e32 v17, v6, v9
	s_movk_i32 s15, 0x394e
	v_fma_f16 v24, v17, s15, v54
	v_mul_f16_sdwa v40, v7, v21 dst_sel:DWORD dst_unused:UNUSED_PAD src0_sel:WORD_1 src1_sel:DWORD
	v_add_f16_e32 v23, v24, v23
	v_mul_f16_sdwa v24, v8, v20 dst_sel:DWORD dst_unused:UNUSED_PAD src0_sel:WORD_1 src1_sel:DWORD
	v_fma_f16 v40, v7, v44, -v40
	v_mul_f16_sdwa v44, v7, v44 dst_sel:DWORD dst_unused:UNUSED_PAD src0_sel:WORD_1 src1_sel:DWORD
	v_fma_f16 v24, v8, v39, -v24
	v_fma_f16 v7, v7, v21, v44
	v_mul_f16_sdwa v21, v8, v39 dst_sel:DWORD dst_unused:UNUSED_PAD src0_sel:WORD_1 src1_sel:DWORD
	v_add_f16_e32 v45, v24, v40
	v_fma_f16 v8, v8, v20, v21
	v_mul_f16_e32 v55, 0x388b, v45
	v_sub_f16_e32 v20, v7, v8
	s_mov_b32 s14, 0xba95
	v_fma_f16 v21, v20, s14, v55
	v_mul_f16_sdwa v39, v0, v22 dst_sel:DWORD dst_unused:UNUSED_PAD src0_sel:WORD_1 src1_sel:DWORD
	v_add_f16_e32 v21, v21, v23
	v_mul_f16_sdwa v23, v3, v19 dst_sel:DWORD dst_unused:UNUSED_PAD src0_sel:WORD_1 src1_sel:DWORD
	v_fma_f16 v39, v0, v38, -v39
	v_mul_f16_sdwa v38, v0, v38 dst_sel:DWORD dst_unused:UNUSED_PAD src0_sel:WORD_1 src1_sel:DWORD
	v_fma_f16 v23, v3, v26, -v23
	v_fma_f16 v0, v0, v22, v38
	v_mul_f16_sdwa v22, v3, v26 dst_sel:DWORD dst_unused:UNUSED_PAD src0_sel:WORD_1 src1_sel:DWORD
	v_add_f16_e32 v44, v23, v39
	v_fma_f16 v3, v3, v19, v22
	v_mul_f16_e32 v56, 0xb5ac, v44
	v_sub_f16_e32 v19, v0, v3
	s_movk_i32 s23, 0x3b7b
	v_fma_f16 v22, v19, s23, v56
	v_mul_f16_sdwa v26, v1, v13 dst_sel:DWORD dst_unused:UNUSED_PAD src0_sel:WORD_1 src1_sel:DWORD
	v_add_f16_e32 v21, v22, v21
	v_mul_f16_sdwa v22, v2, v14 dst_sel:DWORD dst_unused:UNUSED_PAD src0_sel:WORD_1 src1_sel:DWORD
	v_fma_f16 v26, v1, v37, -v26
	v_mul_f16_sdwa v37, v1, v37 dst_sel:DWORD dst_unused:UNUSED_PAD src0_sel:WORD_1 src1_sel:DWORD
	v_fma_f16 v22, v2, v25, -v22
	v_fma_f16 v1, v1, v13, v37
	v_mul_f16_sdwa v13, v2, v25 dst_sel:DWORD dst_unused:UNUSED_PAD src0_sel:WORD_1 src1_sel:DWORD
	v_add_f16_e32 v38, v22, v26
	v_fma_f16 v2, v2, v14, v13
	v_mul_f16_e32 v57, 0x2fb7, v38
	v_sub_f16_e32 v13, v1, v2
	s_mov_b32 s19, 0xbbf1
	v_fma_f16 v14, v13, s19, v57
	v_sub_f16_e32 v25, v49, v48
	s_mov_b32 s4, 0xbbc4
	v_add_f16_e32 v14, v14, v21
	v_add_f16_e32 v21, v11, v4
	v_mul_f16_e32 v37, 0xb3a8, v25
	v_sub_f16_e32 v60, v47, v43
	s_movk_i32 s5, 0x3b15
	v_fma_f16 v58, v21, s4, v37
	v_add_f16_e32 v59, v10, v5
	v_mul_f16_e32 v61, 0x3770, v60
	v_add_f16_e32 v58, v58, v15
	v_fma_f16 v62, v59, s5, v61
	v_sub_f16_e32 v63, v42, v41
	s_mov_b32 s6, 0xb9fd
	v_add_f16_e32 v58, v62, v58
	v_add_f16_e32 v62, v9, v6
	v_mul_f16_e32 v64, 0xb94e, v63
	v_fma_f16 v65, v62, s6, v64
	v_sub_f16_e32 v66, v40, v24
	s_movk_i32 s12, 0x388b
	v_add_f16_e32 v58, v65, v58
	v_add_f16_e32 v65, v8, v7
	v_mul_f16_e32 v67, 0x3a95, v66
	v_fma_f16 v68, v65, s12, v67
	v_sub_f16_e32 v69, v39, v23
	s_mov_b32 s13, 0xb5ac
	v_add_f16_e32 v58, v68, v58
	v_add_f16_e32 v68, v3, v0
	v_mul_f16_e32 v70, 0xbb7b, v69
	v_fma_f16 v71, v68, s13, v70
	v_sub_f16_e32 v72, v26, v22
	s_movk_i32 s16, 0x2fb7
	v_add_f16_e32 v58, v71, v58
	v_add_f16_e32 v71, v2, v1
	v_mul_f16_e32 v73, 0x3bf1, v72
	v_fma_f16 v74, v71, s16, v73
	v_add_f16_e32 v58, v74, v58
	v_mul_f16_e32 v74, 0xb9fd, v50
	v_fma_f16 v75, v16, s15, v74
	v_mul_f16_e32 v76, 0x2fb7, v52
	v_add_f16_sdwa v75, v75, v15 dst_sel:DWORD dst_unused:UNUSED_PAD src0_sel:DWORD src1_sel:WORD_1
	v_fma_f16 v77, v18, s19, v76
	s_movk_i32 s25, 0x3a95
	v_add_f16_e32 v75, v77, v75
	v_mul_f16_e32 v77, 0x388b, v46
	v_fma_f16 v78, v17, s25, v77
	s_mov_b32 s18, 0xb3a8
	v_add_f16_e32 v75, v78, v75
	v_mul_f16_e32 v78, 0xbbc4, v45
	v_fma_f16 v79, v20, s18, v78
	v_add_f16_e32 v75, v79, v75
	v_mul_f16_e32 v79, 0x3b15, v44
	v_fma_f16 v80, v19, s7, v79
	;; [unrolled: 3-line block ×4, first 2 shown]
	v_mul_f16_e32 v83, 0x3bf1, v60
	v_add_f16_e32 v82, v82, v15
	v_fma_f16 v84, v59, s16, v83
	v_add_f16_e32 v82, v84, v82
	v_mul_f16_e32 v84, 0xba95, v63
	v_fma_f16 v85, v62, s12, v84
	v_add_f16_e32 v82, v85, v82
	v_mul_f16_e32 v85, 0x33a8, v66
	v_fma_f16 v86, v65, s4, v85
	v_add_f16_e32 v82, v86, v82
	v_mul_f16_e32 v86, 0x3770, v69
	v_fma_f16 v87, v68, s5, v86
	v_add_f16_e32 v82, v87, v82
	v_mul_f16_e32 v87, 0xbb7b, v72
	v_fma_f16 v88, v71, s13, v87
	v_add_f16_e32 v82, v88, v82
	v_mul_f16_e32 v88, 0xb5ac, v50
	s_mov_b32 s20, 0xb94e
	v_fma_f16 v89, v16, s23, v88
	v_mul_f16_e32 v90, 0xb9fd, v52
	v_add_f16_sdwa v89, v89, v15 dst_sel:DWORD dst_unused:UNUSED_PAD src0_sel:DWORD src1_sel:WORD_1
	v_fma_f16 v91, v18, s20, v90
	v_add_f16_e32 v89, v91, v89
	v_mul_f16_e32 v91, 0x3b15, v46
	v_fma_f16 v92, v17, s7, v91
	s_movk_i32 s24, 0x3bf1
	v_add_f16_e32 v89, v92, v89
	v_mul_f16_e32 v92, 0x2fb7, v45
	v_fma_f16 v93, v20, s24, v92
	v_add_f16_e32 v89, v93, v89
	v_mul_f16_e32 v93, 0xbbc4, v44
	v_fma_f16 v94, v19, s18, v93
	;; [unrolled: 3-line block ×4, first 2 shown]
	v_mul_f16_e32 v97, 0x394e, v60
	v_add_f16_e32 v96, v96, v15
	v_fma_f16 v98, v59, s6, v97
	v_add_f16_e32 v96, v98, v96
	v_mul_f16_e32 v98, 0x3770, v63
	v_fma_f16 v99, v62, s5, v98
	v_add_f16_e32 v96, v99, v96
	v_mul_f16_e32 v99, 0xbbf1, v66
	v_fma_f16 v100, v65, s16, v99
	v_add_f16_e32 v96, v100, v96
	v_mul_f16_e32 v100, 0x33a8, v69
	s_movk_i32 s22, 0x3770
	v_fma_f16 v101, v68, s4, v100
	v_fma_f16 v51, v16, s18, v51
	v_add_f16_e32 v96, v101, v96
	v_mul_f16_e32 v101, 0x3a95, v72
	v_add_f16_sdwa v51, v51, v15 dst_sel:DWORD dst_unused:UNUSED_PAD src0_sel:DWORD src1_sel:WORD_1
	v_fma_f16 v53, v18, s22, v53
	v_fma_f16 v102, v71, s12, v101
	v_add_f16_e32 v51, v53, v51
	v_fma_f16 v53, v17, s20, v54
	s_mov_b32 s21, 0xbb7b
	v_add_f16_e32 v96, v102, v96
	v_mul_f16_e32 v102, 0x2fb7, v50
	v_add_f16_e32 v51, v53, v51
	v_fma_f16 v53, v20, s25, v55
	v_fma_f16 v103, v16, s24, v102
	v_mul_f16_e32 v104, 0xbbc4, v52
	v_add_f16_e32 v51, v53, v51
	v_fma_f16 v53, v19, s21, v56
	v_add_f16_sdwa v103, v103, v15 dst_sel:DWORD dst_unused:UNUSED_PAD src0_sel:DWORD src1_sel:WORD_1
	v_fma_f16 v105, v18, s17, v104
	v_add_f16_e32 v51, v53, v51
	v_fma_f16 v53, v13, s24, v57
	v_fma_f16 v37, v21, s4, -v37
	v_add_f16_e32 v103, v105, v103
	v_mul_f16_e32 v105, 0xb5ac, v46
	v_add_f16_e32 v51, v53, v51
	v_add_f16_e32 v37, v37, v15
	v_fma_f16 v53, v59, s5, -v61
	v_fma_f16 v106, v17, s21, v105
	v_add_f16_e32 v37, v53, v37
	v_fma_f16 v53, v62, s6, -v64
	v_add_f16_e32 v103, v106, v103
	v_mul_f16_e32 v106, 0x3b15, v45
	v_add_f16_e32 v37, v53, v37
	v_fma_f16 v53, v65, s12, -v67
	v_fma_f16 v107, v20, s7, v106
	v_add_f16_e32 v37, v53, v37
	v_fma_f16 v53, v68, s13, -v70
	v_add_f16_e32 v103, v107, v103
	v_mul_f16_e32 v107, 0x388b, v44
	v_add_f16_e32 v37, v53, v37
	v_fma_f16 v53, v71, s16, -v73
	v_fma_f16 v108, v19, s25, v107
	v_add_f16_e32 v37, v53, v37
	v_fma_f16 v53, v16, s20, v74
	v_add_f16_e32 v103, v108, v103
	v_mul_f16_e32 v108, 0xb9fd, v38
	v_add_f16_sdwa v53, v53, v15 dst_sel:DWORD dst_unused:UNUSED_PAD src0_sel:DWORD src1_sel:WORD_1
	v_fma_f16 v54, v18, s24, v76
	v_fma_f16 v109, v13, s15, v108
	v_add_f16_e32 v53, v54, v53
	v_fma_f16 v54, v17, s14, v77
	v_add_f16_e32 v103, v109, v103
	v_mul_f16_e32 v109, 0xbbf1, v25
	v_add_f16_e32 v53, v54, v53
	v_fma_f16 v54, v20, s17, v78
	v_fma_f16 v110, v21, s16, v109
	v_mul_f16_e32 v111, 0xb3a8, v60
	v_add_f16_e32 v53, v54, v53
	v_fma_f16 v54, v19, s22, v79
	v_add_f16_e32 v110, v110, v15
	v_fma_f16 v112, v59, s4, v111
	;; [unrolled: 2-line block ×3, first 2 shown]
	v_add_f16_e32 v110, v112, v110
	v_mul_f16_e32 v112, 0x3b7b, v63
	v_add_f16_e32 v53, v54, v53
	v_fma_f16 v54, v21, s6, -v81
	v_fma_f16 v113, v62, s13, v112
	v_add_f16_e32 v54, v54, v15
	v_fma_f16 v55, v59, s16, -v83
	v_add_f16_e32 v110, v113, v110
	v_mul_f16_e32 v113, 0x3770, v66
	v_add_f16_e32 v54, v55, v54
	v_fma_f16 v55, v62, s12, -v84
	v_fma_f16 v114, v65, s5, v113
	v_add_f16_e32 v54, v55, v54
	v_fma_f16 v55, v65, s4, -v85
	;; [unrolled: 7-line block ×3, first 2 shown]
	v_add_f16_e32 v110, v115, v110
	v_mul_f16_e32 v115, 0xb94e, v72
	v_add_f16_e32 v54, v55, v54
	v_fma_f16 v55, v16, s21, v88
	v_fma_f16 v116, v71, s6, v115
	v_add_f16_sdwa v55, v55, v15 dst_sel:DWORD dst_unused:UNUSED_PAD src0_sel:DWORD src1_sel:WORD_1
	v_fma_f16 v56, v18, s15, v90
	v_add_f16_e32 v110, v116, v110
	v_mul_f16_e32 v116, 0x388b, v50
	v_add_f16_e32 v55, v56, v55
	v_fma_f16 v56, v17, s22, v91
	v_fma_f16 v117, v16, s25, v116
	v_mul_f16_e32 v118, 0xb5ac, v52
	v_add_f16_e32 v55, v56, v55
	v_fma_f16 v56, v20, s19, v92
	v_add_f16_sdwa v117, v117, v15 dst_sel:DWORD dst_unused:UNUSED_PAD src0_sel:DWORD src1_sel:WORD_1
	v_fma_f16 v119, v18, s23, v118
	v_add_f16_e32 v55, v56, v55
	v_fma_f16 v56, v19, s17, v93
	v_add_f16_e32 v117, v119, v117
	v_mul_f16_e32 v119, 0xbbc4, v46
	v_add_f16_e32 v55, v56, v55
	v_fma_f16 v56, v13, s25, v94
	v_fma_f16 v120, v17, s17, v119
	v_add_f16_e32 v55, v56, v55
	v_fma_f16 v56, v21, s13, -v95
	v_add_f16_e32 v117, v120, v117
	v_mul_f16_e32 v120, 0xb9fd, v45
	v_add_f16_e32 v56, v56, v15
	v_fma_f16 v57, v59, s6, -v97
	v_fma_f16 v121, v20, s20, v120
	v_add_f16_e32 v56, v57, v56
	v_fma_f16 v57, v62, s5, -v98
	v_add_f16_e32 v117, v121, v117
	v_mul_f16_e32 v121, 0x2fb7, v44
	v_add_f16_e32 v56, v57, v56
	v_fma_f16 v57, v65, s16, -v99
	;; [unrolled: 7-line block ×3, first 2 shown]
	v_fma_f16 v123, v13, s7, v122
	v_add_f16_e32 v56, v57, v56
	v_fma_f16 v57, v16, s19, v102
	v_add_f16_e32 v117, v123, v117
	v_mul_f16_e32 v123, 0xba95, v25
	v_add_f16_sdwa v57, v57, v15 dst_sel:DWORD dst_unused:UNUSED_PAD src0_sel:DWORD src1_sel:WORD_1
	v_fma_f16 v61, v18, s18, v104
	v_fma_f16 v124, v21, s12, v123
	v_mul_f16_e32 v125, 0xbb7b, v60
	v_add_f16_e32 v57, v61, v57
	v_fma_f16 v61, v17, s23, v105
	v_add_f16_e32 v124, v124, v15
	v_fma_f16 v126, v59, s13, v125
	;; [unrolled: 2-line block ×3, first 2 shown]
	v_add_f16_e32 v124, v126, v124
	v_mul_f16_e32 v126, 0xb3a8, v63
	v_add_f16_e32 v57, v61, v57
	v_fma_f16 v61, v19, s14, v107
	v_fma_f16 v127, v62, s4, v126
	v_add_f16_e32 v57, v61, v57
	v_fma_f16 v61, v13, s20, v108
	v_add_f16_e32 v124, v127, v124
	v_mul_f16_e32 v127, 0x394e, v66
	v_add_f16_e32 v57, v61, v57
	v_fma_f16 v61, v21, s16, -v109
	v_fma_f16 v128, v65, s6, v127
	v_add_f16_e32 v61, v61, v15
	v_fma_f16 v64, v59, s4, -v111
	v_add_f16_e32 v124, v128, v124
	v_mul_f16_e32 v128, 0x3bf1, v69
	v_add_f16_e32 v61, v64, v61
	v_fma_f16 v64, v62, s13, -v112
	v_fma_f16 v129, v68, s16, v128
	v_add_f16_e32 v61, v64, v61
	v_fma_f16 v64, v65, s5, -v113
	v_add_f16_e32 v124, v129, v124
	v_mul_f16_e32 v129, 0x3770, v72
	v_add_f16_e32 v61, v64, v61
	v_fma_f16 v64, v68, s12, -v114
	v_fma_f16 v130, v71, s5, v129
	v_mul_f16_e32 v50, 0x3b15, v50
	v_add_f16_e32 v61, v64, v61
	v_fma_f16 v64, v71, s6, -v115
	v_add_f16_e32 v124, v130, v124
	v_fma_f16 v130, v16, s22, v50
	v_mul_f16_e32 v52, 0x388b, v52
	v_add_f16_e32 v61, v64, v61
	v_fma_f16 v64, v16, s14, v116
	v_fma_f16 v16, v16, s7, v50
	v_add_f16_sdwa v130, v130, v15 dst_sel:DWORD dst_unused:UNUSED_PAD src0_sel:DWORD src1_sel:WORD_1
	v_fma_f16 v131, v18, s25, v52
	v_mul_f16_e32 v46, 0x2fb7, v46
	v_add_f16_sdwa v64, v64, v15 dst_sel:DWORD dst_unused:UNUSED_PAD src0_sel:DWORD src1_sel:WORD_1
	v_fma_f16 v67, v18, s21, v118
	v_add_f16_sdwa v16, v16, v15 dst_sel:DWORD dst_unused:UNUSED_PAD src0_sel:DWORD src1_sel:WORD_1
	v_fma_f16 v18, v18, s14, v52
	v_add_f16_e32 v130, v131, v130
	v_fma_f16 v131, v17, s24, v46
	v_mul_f16_e32 v45, 0xb5ac, v45
	v_add_f16_e32 v64, v67, v64
	v_fma_f16 v67, v17, s18, v119
	v_add_f16_e32 v16, v18, v16
	v_fma_f16 v17, v17, s19, v46
	v_add_f16_e32 v130, v131, v130
	v_fma_f16 v131, v20, s23, v45
	v_mul_f16_e32 v44, 0xb9fd, v44
	v_add_f16_e32 v64, v67, v64
	v_fma_f16 v67, v20, s15, v120
	v_add_f16_e32 v16, v17, v16
	;; [unrolled: 7-line block ×4, first 2 shown]
	v_fma_f16 v13, v13, s18, v38
	v_mul_f16_e32 v60, 0xba95, v60
	v_add_f16_e32 v13, v13, v16
	v_fma_f16 v16, v21, s5, -v25
	v_mul_f16_e32 v63, 0xbbf1, v63
	v_add_f16_e32 v16, v16, v15
	v_fma_f16 v17, v59, s12, -v60
	;; [unrolled: 3-line block ×5, first 2 shown]
	v_add_f16_e32 v16, v17, v16
	v_fma_f16 v17, v71, s4, -v72
	v_add_f16_e32 v16, v17, v16
	v_add_f16_sdwa v17, v49, v15 dst_sel:DWORD dst_unused:UNUSED_PAD src0_sel:DWORD src1_sel:WORD_1
	v_add_f16_e32 v4, v4, v15
	v_add_f16_e32 v17, v47, v17
	;; [unrolled: 1-line block ×12, first 2 shown]
	v_fma_f16 v131, v21, s5, v25
	v_add_f16_e32 v17, v22, v17
	v_add_f16_e32 v0, v2, v0
	v_add_f16_e32 v131, v131, v15
	v_fma_f16 v132, v59, s12, v60
	v_add_f16_e32 v17, v23, v17
	v_add_f16_e32 v0, v3, v0
	v_add_f16_e32 v131, v132, v131
	;; [unrolled: 4-line block ×5, first 2 shown]
	v_fma_f16 v132, v71, s4, v72
	v_add_f16_e32 v64, v67, v64
	v_fma_f16 v67, v21, s12, -v123
	v_add_f16_sdwa v17, v48, v17 dst_sel:WORD_1 dst_unused:UNUSED_PAD src0_sel:DWORD src1_sel:DWORD
	v_add_f16_e32 v0, v11, v0
	v_add_f16_e32 v131, v132, v131
	;; [unrolled: 1-line block ×3, first 2 shown]
	v_fma_f16 v70, v59, s13, -v125
	v_or_b32_e32 v0, v17, v0
	v_add_f16_e32 v67, v70, v67
	v_fma_f16 v70, v62, s4, -v126
	ds_write_b32 v28, v0
	v_lshl_add_u32 v0, v34, 2, v36
	v_pack_b32_f16 v1, v131, v130
	v_pack_b32_f16 v2, v124, v117
	v_add_f16_e32 v67, v70, v67
	v_fma_f16 v70, v65, s6, -v127
	ds_write2_b32 v0, v1, v2 offset0:7 offset1:14
	v_pack_b32_f16 v1, v110, v103
	v_pack_b32_f16 v2, v96, v89
	v_add_f16_e32 v67, v70, v67
	v_fma_f16 v70, v68, s16, -v128
	ds_write2_b32 v0, v1, v2 offset0:21 offset1:28
	;; [unrolled: 5-line block ×3, first 2 shown]
	v_pack_b32_f16 v1, v37, v51
	v_pack_b32_f16 v2, v54, v53
	v_add_f16_e32 v67, v70, v67
	ds_write2_b32 v0, v1, v2 offset0:49 offset1:56
	v_pack_b32_f16 v1, v56, v55
	v_pack_b32_f16 v2, v61, v57
	ds_write2_b32 v0, v1, v2 offset0:63 offset1:70
	v_pack_b32_f16 v1, v67, v64
	v_pack_b32_f16 v2, v16, v13
	ds_write2_b32 v0, v1, v2 offset0:77 offset1:84
.LBB0_9:
	s_or_b64 exec, exec, s[0:1]
	s_waitcnt lgkmcnt(0)
	s_barrier
	ds_read2_b32 v[0:1], v28 offset1:13
	s_mov_b32 s4, 0x16816817
	s_mov_b32 s5, 0x3f868168
	v_mad_u64_u32 v[4:5], s[0:1], s10, v12, 0
	s_waitcnt lgkmcnt(0)
	v_lshrrev_b32_e32 v7, 16, v0
	v_mul_f16_sdwa v2, v35, v7 dst_sel:DWORD dst_unused:UNUSED_PAD src0_sel:WORD_1 src1_sel:DWORD
	v_fma_f16 v2, v35, v0, v2
	v_cvt_f32_f16_e32 v2, v2
	s_movk_i32 s6, 0x1ff
	v_mad_u64_u32 v[5:6], s[0:1], s11, v12, v[5:6]
	v_cvt_f64_f32_e32 v[2:3], v2
	s_movk_i32 s7, 0xffe
	v_mul_f16_sdwa v0, v35, v0 dst_sel:DWORD dst_unused:UNUSED_PAD src0_sel:WORD_1 src1_sel:DWORD
	v_fma_f16 v0, v35, v7, -v0
	v_mul_f64 v[2:3], v[2:3], s[4:5]
	v_cvt_f32_f16_e32 v7, v0
	v_mov_b32_e32 v0, 0x7c00
	s_movk_i32 s10, 0x40f
	s_mov_b32 s11, 0x8000
	v_and_or_b32 v2, v3, s6, v2
	v_cmp_ne_u32_e32 vcc, 0, v2
	v_lshrrev_b32_e32 v6, 8, v3
	v_bfe_u32 v8, v3, 20, 11
	v_cndmask_b32_e64 v2, 0, 1, vcc
	v_sub_u32_e32 v9, 0x3f1, v8
	v_and_or_b32 v2, v6, s7, v2
	v_or_b32_e32 v6, 0x1000, v2
	v_med3_i32 v9, v9, 0, 13
	v_lshrrev_b32_e32 v10, v9, v6
	v_lshlrev_b32_e32 v9, v9, v10
	v_cmp_ne_u32_e32 vcc, v9, v6
	v_cndmask_b32_e64 v6, 0, 1, vcc
	v_add_u32_e32 v8, 0xfffffc10, v8
	v_or_b32_e32 v6, v10, v6
	v_lshl_or_b32 v9, v8, 12, v2
	v_cmp_gt_i32_e32 vcc, 1, v8
	v_cndmask_b32_e32 v6, v9, v6, vcc
	v_and_b32_e32 v9, 7, v6
	v_cmp_lt_i32_e32 vcc, 5, v9
	v_cmp_eq_u32_e64 s[0:1], 3, v9
	v_lshrrev_b32_e32 v6, 2, v6
	s_or_b64 vcc, s[0:1], vcc
	v_addc_co_u32_e32 v9, vcc, 0, v6, vcc
	v_cvt_f64_f32_e32 v[6:7], v7
	v_cmp_gt_i32_e32 vcc, 31, v8
	v_cndmask_b32_e32 v9, v0, v9, vcc
	v_cmp_ne_u32_e32 vcc, 0, v2
	v_mul_f64 v[6:7], v[6:7], s[4:5]
	v_cndmask_b32_e64 v2, 0, 1, vcc
	v_lshl_or_b32 v2, v2, 9, v0
	v_cmp_eq_u32_e32 vcc, s10, v8
	v_cndmask_b32_e32 v2, v9, v2, vcc
	v_lshrrev_b32_e32 v3, 16, v3
	v_and_or_b32 v10, v3, s11, v2
	v_and_or_b32 v2, v7, s6, v6
	v_cmp_ne_u32_e32 vcc, 0, v2
	v_cndmask_b32_e64 v2, 0, 1, vcc
	v_lshrrev_b32_e32 v3, 8, v7
	v_and_or_b32 v6, v3, s7, v2
	v_bfe_u32 v3, v7, 20, 11
	v_sub_u32_e32 v8, 0x3f1, v3
	v_or_b32_e32 v2, 0x1000, v6
	v_med3_i32 v8, v8, 0, 13
	v_lshrrev_b32_e32 v9, v8, v2
	v_lshlrev_b32_e32 v8, v8, v9
	v_cmp_ne_u32_e32 vcc, v8, v2
	v_cndmask_b32_e64 v2, 0, 1, vcc
	v_add_u32_e32 v11, 0xfffffc10, v3
	v_or_b32_e32 v2, v9, v2
	v_lshl_or_b32 v3, v11, 12, v6
	v_cmp_gt_i32_e32 vcc, 1, v11
	v_cndmask_b32_e32 v2, v3, v2, vcc
	v_and_b32_e32 v3, 7, v2
	v_cmp_lt_i32_e32 vcc, 5, v3
	v_cmp_eq_u32_e64 s[0:1], 3, v3
	v_lshrrev_b32_e32 v2, 2, v2
	s_or_b64 vcc, s[0:1], vcc
	v_addc_co_u32_e32 v2, vcc, 0, v2, vcc
	v_cmp_gt_i32_e32 vcc, 31, v11
	v_cndmask_b32_e32 v12, v0, v2, vcc
	v_mad_u64_u32 v[2:3], s[0:1], s8, v34, 0
	v_cmp_ne_u32_e32 vcc, 0, v6
	v_cndmask_b32_e64 v6, 0, 1, vcc
	v_mad_u64_u32 v[8:9], s[0:1], s9, v34, v[3:4]
	v_lshl_or_b32 v6, v6, 9, v0
	v_cmp_eq_u32_e32 vcc, s10, v11
	v_cndmask_b32_e32 v3, v12, v6, vcc
	v_lshrrev_b32_e32 v6, 16, v7
	v_and_or_b32 v6, v6, s11, v3
	v_mov_b32_e32 v3, v8
	v_lshrrev_b32_e32 v8, 16, v1
	v_mul_f16_sdwa v9, v33, v8 dst_sel:DWORD dst_unused:UNUSED_PAD src0_sel:WORD_1 src1_sel:DWORD
	v_fma_f16 v9, v33, v1, v9
	v_cvt_f32_f16_e32 v9, v9
	v_and_b32_e32 v7, 0xffff, v10
	v_lshl_or_b32 v10, v6, 16, v7
	v_lshlrev_b64 v[4:5], 2, v[4:5]
	v_cvt_f64_f32_e32 v[6:7], v9
	v_mov_b32_e32 v11, s3
	v_add_co_u32_e32 v9, vcc, s2, v4
	v_addc_co_u32_e32 v11, vcc, v11, v5, vcc
	v_mul_f64 v[4:5], v[6:7], s[4:5]
	v_lshlrev_b64 v[2:3], 2, v[2:3]
	v_mul_f16_sdwa v1, v33, v1 dst_sel:DWORD dst_unused:UNUSED_PAD src0_sel:WORD_1 src1_sel:DWORD
	v_add_co_u32_e32 v2, vcc, v9, v2
	v_addc_co_u32_e32 v3, vcc, v11, v3, vcc
	global_store_dword v[2:3], v10, off
	v_and_or_b32 v4, v5, s6, v4
	v_cmp_ne_u32_e32 vcc, 0, v4
	v_cndmask_b32_e64 v4, 0, 1, vcc
	v_lshrrev_b32_e32 v9, 8, v5
	v_bfe_u32 v10, v5, 20, 11
	v_and_or_b32 v4, v9, s7, v4
	v_sub_u32_e32 v11, 0x3f1, v10
	v_or_b32_e32 v9, 0x1000, v4
	v_med3_i32 v11, v11, 0, 13
	v_lshrrev_b32_e32 v12, v11, v9
	v_lshlrev_b32_e32 v11, v11, v12
	v_cmp_ne_u32_e32 vcc, v11, v9
	v_fma_f16 v1, v33, v8, -v1
	v_cndmask_b32_e64 v9, 0, 1, vcc
	v_add_u32_e32 v10, 0xfffffc10, v10
	v_cvt_f32_f16_e32 v1, v1
	v_or_b32_e32 v9, v12, v9
	v_lshl_or_b32 v11, v10, 12, v4
	v_cmp_gt_i32_e32 vcc, 1, v10
	v_cndmask_b32_e32 v9, v11, v9, vcc
	v_and_b32_e32 v11, 7, v9
	v_cmp_lt_i32_e32 vcc, 5, v11
	v_cmp_eq_u32_e64 s[0:1], 3, v11
	v_lshrrev_b32_e32 v11, 2, v9
	v_cvt_f64_f32_e32 v[8:9], v1
	s_or_b64 vcc, s[0:1], vcc
	v_addc_co_u32_e32 v1, vcc, 0, v11, vcc
	v_mul_f64 v[8:9], v[8:9], s[4:5]
	v_cmp_gt_i32_e32 vcc, 31, v10
	v_cndmask_b32_e32 v1, v0, v1, vcc
	v_cmp_ne_u32_e32 vcc, 0, v4
	v_cndmask_b32_e64 v4, 0, 1, vcc
	v_lshl_or_b32 v4, v4, 9, v0
	v_cmp_eq_u32_e32 vcc, s10, v10
	v_cndmask_b32_e32 v1, v1, v4, vcc
	v_lshrrev_b32_e32 v4, 16, v5
	v_and_or_b32 v1, v4, s11, v1
	v_and_or_b32 v4, v9, s6, v8
	v_cmp_ne_u32_e32 vcc, 0, v4
	v_cndmask_b32_e64 v4, 0, 1, vcc
	v_lshrrev_b32_e32 v5, 8, v9
	v_bfe_u32 v8, v9, 20, 11
	v_and_or_b32 v4, v5, s7, v4
	v_sub_u32_e32 v10, 0x3f1, v8
	v_or_b32_e32 v5, 0x1000, v4
	v_med3_i32 v10, v10, 0, 13
	v_lshrrev_b32_e32 v11, v10, v5
	v_lshlrev_b32_e32 v10, v10, v11
	v_cmp_ne_u32_e32 vcc, v10, v5
	v_cndmask_b32_e64 v5, 0, 1, vcc
	v_add_u32_e32 v8, 0xfffffc10, v8
	v_or_b32_e32 v5, v11, v5
	v_lshl_or_b32 v10, v8, 12, v4
	v_cmp_gt_i32_e32 vcc, 1, v8
	v_cndmask_b32_e32 v5, v10, v5, vcc
	v_and_b32_e32 v10, 7, v5
	v_cmp_lt_i32_e32 vcc, 5, v10
	v_cmp_eq_u32_e64 s[0:1], 3, v10
	ds_read2_b32 v[6:7], v28 offset0:26 offset1:39
	v_lshrrev_b32_e32 v5, 2, v5
	s_or_b64 vcc, s[0:1], vcc
	v_addc_co_u32_e32 v5, vcc, 0, v5, vcc
	v_cmp_gt_i32_e32 vcc, 31, v8
	v_cndmask_b32_e32 v5, v0, v5, vcc
	v_cmp_ne_u32_e32 vcc, 0, v4
	v_cndmask_b32_e64 v4, 0, 1, vcc
	v_lshl_or_b32 v4, v4, 9, v0
	v_cmp_eq_u32_e32 vcc, s10, v8
	s_waitcnt lgkmcnt(0)
	v_lshrrev_b32_e32 v8, 16, v6
	v_cndmask_b32_e32 v4, v5, v4, vcc
	v_lshrrev_b32_e32 v5, 16, v9
	v_mul_f16_sdwa v9, v32, v8 dst_sel:DWORD dst_unused:UNUSED_PAD src0_sel:WORD_1 src1_sel:DWORD
	v_fma_f16 v9, v32, v6, v9
	v_cvt_f32_f16_e32 v9, v9
	v_and_or_b32 v4, v5, s11, v4
	v_and_b32_e32 v1, 0xffff, v1
	v_lshl_or_b32 v10, v4, 16, v1
	v_cvt_f64_f32_e32 v[4:5], v9
	s_mul_i32 s0, s9, 52
	s_mul_hi_u32 s2, s8, 52
	s_add_i32 s2, s2, s0
	v_mul_f64 v[4:5], v[4:5], s[4:5]
	s_mul_i32 s3, s8, 52
	v_mov_b32_e32 v9, s2
	v_add_co_u32_e32 v1, vcc, s3, v2
	v_addc_co_u32_e32 v2, vcc, v3, v9, vcc
	global_store_dword v[1:2], v10, off
	v_and_or_b32 v3, v5, s6, v4
	v_cmp_ne_u32_e32 vcc, 0, v3
	v_cndmask_b32_e64 v3, 0, 1, vcc
	v_lshrrev_b32_e32 v4, 8, v5
	v_and_or_b32 v9, v4, s7, v3
	v_bfe_u32 v4, v5, 20, 11
	v_sub_u32_e32 v10, 0x3f1, v4
	v_or_b32_e32 v3, 0x1000, v9
	v_med3_i32 v10, v10, 0, 13
	v_lshrrev_b32_e32 v11, v10, v3
	v_lshlrev_b32_e32 v10, v10, v11
	v_mul_f16_sdwa v6, v32, v6 dst_sel:DWORD dst_unused:UNUSED_PAD src0_sel:WORD_1 src1_sel:DWORD
	v_cmp_ne_u32_e32 vcc, v10, v3
	v_fma_f16 v6, v32, v8, -v6
	v_cndmask_b32_e64 v3, 0, 1, vcc
	v_add_u32_e32 v10, 0xfffffc10, v4
	v_cvt_f32_f16_e32 v6, v6
	v_or_b32_e32 v3, v11, v3
	v_lshl_or_b32 v4, v10, 12, v9
	v_cmp_gt_i32_e32 vcc, 1, v10
	v_cndmask_b32_e32 v3, v4, v3, vcc
	v_and_b32_e32 v4, 7, v3
	v_cmp_lt_i32_e32 vcc, 5, v4
	v_cmp_eq_u32_e64 s[0:1], 3, v4
	v_lshrrev_b32_e32 v8, 2, v3
	v_cvt_f64_f32_e32 v[3:4], v6
	s_or_b64 vcc, s[0:1], vcc
	v_addc_co_u32_e32 v6, vcc, 0, v8, vcc
	v_mul_f64 v[3:4], v[3:4], s[4:5]
	v_cmp_gt_i32_e32 vcc, 31, v10
	v_cndmask_b32_e32 v6, v0, v6, vcc
	v_cmp_ne_u32_e32 vcc, 0, v9
	v_cndmask_b32_e64 v8, 0, 1, vcc
	v_lshl_or_b32 v8, v8, 9, v0
	v_cmp_eq_u32_e32 vcc, s10, v10
	v_cndmask_b32_e32 v6, v6, v8, vcc
	v_and_or_b32 v3, v4, s6, v3
	v_lshrrev_b32_e32 v5, 16, v5
	v_cmp_ne_u32_e32 vcc, 0, v3
	v_and_or_b32 v8, v5, s11, v6
	v_cndmask_b32_e64 v3, 0, 1, vcc
	v_lshrrev_b32_e32 v5, 8, v4
	v_bfe_u32 v6, v4, 20, 11
	v_and_or_b32 v3, v5, s7, v3
	v_sub_u32_e32 v9, 0x3f1, v6
	v_or_b32_e32 v5, 0x1000, v3
	v_med3_i32 v9, v9, 0, 13
	v_lshrrev_b32_e32 v10, v9, v5
	v_lshlrev_b32_e32 v9, v9, v10
	v_cmp_ne_u32_e32 vcc, v9, v5
	v_cndmask_b32_e64 v5, 0, 1, vcc
	v_add_u32_e32 v6, 0xfffffc10, v6
	v_or_b32_e32 v5, v10, v5
	v_lshl_or_b32 v9, v6, 12, v3
	v_cmp_gt_i32_e32 vcc, 1, v6
	v_cndmask_b32_e32 v5, v9, v5, vcc
	v_and_b32_e32 v9, 7, v5
	v_cmp_lt_i32_e32 vcc, 5, v9
	v_cmp_eq_u32_e64 s[0:1], 3, v9
	v_lshrrev_b32_e32 v9, 16, v7
	v_lshrrev_b32_e32 v5, 2, v5
	s_or_b64 vcc, s[0:1], vcc
	v_mul_f16_sdwa v10, v31, v9 dst_sel:DWORD dst_unused:UNUSED_PAD src0_sel:WORD_1 src1_sel:DWORD
	v_addc_co_u32_e32 v5, vcc, 0, v5, vcc
	v_fma_f16 v10, v31, v7, v10
	v_cmp_gt_i32_e32 vcc, 31, v6
	v_cvt_f32_f16_e32 v10, v10
	v_cndmask_b32_e32 v5, v0, v5, vcc
	v_cmp_ne_u32_e32 vcc, 0, v3
	v_cndmask_b32_e64 v3, 0, 1, vcc
	v_lshl_or_b32 v3, v3, 9, v0
	v_cmp_eq_u32_e32 vcc, s10, v6
	v_cndmask_b32_e32 v3, v5, v3, vcc
	v_cvt_f64_f32_e32 v[5:6], v10
	v_lshrrev_b32_e32 v4, 16, v4
	v_and_or_b32 v10, v4, s11, v3
	v_add_co_u32_e32 v1, vcc, s3, v1
	v_mul_f64 v[3:4], v[5:6], s[4:5]
	v_mov_b32_e32 v6, s2
	v_and_b32_e32 v8, 0xffff, v8
	v_addc_co_u32_e32 v2, vcc, v2, v6, vcc
	v_lshl_or_b32 v5, v10, 16, v8
	global_store_dword v[1:2], v5, off
	v_mul_f16_sdwa v7, v31, v7 dst_sel:DWORD dst_unused:UNUSED_PAD src0_sel:WORD_1 src1_sel:DWORD
	v_and_or_b32 v3, v4, s6, v3
	v_cmp_ne_u32_e32 vcc, 0, v3
	v_cndmask_b32_e64 v3, 0, 1, vcc
	v_lshrrev_b32_e32 v5, 8, v4
	v_bfe_u32 v6, v4, 20, 11
	v_and_or_b32 v3, v5, s7, v3
	v_sub_u32_e32 v8, 0x3f1, v6
	v_or_b32_e32 v5, 0x1000, v3
	v_med3_i32 v8, v8, 0, 13
	v_lshrrev_b32_e32 v10, v8, v5
	v_lshlrev_b32_e32 v8, v8, v10
	v_cmp_ne_u32_e32 vcc, v8, v5
	v_fma_f16 v7, v31, v9, -v7
	v_cndmask_b32_e64 v5, 0, 1, vcc
	v_add_u32_e32 v8, 0xfffffc10, v6
	v_cvt_f32_f16_e32 v7, v7
	v_or_b32_e32 v5, v10, v5
	v_lshl_or_b32 v6, v8, 12, v3
	v_cmp_gt_i32_e32 vcc, 1, v8
	v_cndmask_b32_e32 v5, v6, v5, vcc
	v_and_b32_e32 v6, 7, v5
	v_cmp_lt_i32_e32 vcc, 5, v6
	v_cmp_eq_u32_e64 s[0:1], 3, v6
	v_lshrrev_b32_e32 v9, 2, v5
	v_cvt_f64_f32_e32 v[5:6], v7
	s_or_b64 vcc, s[0:1], vcc
	v_addc_co_u32_e32 v7, vcc, 0, v9, vcc
	v_mul_f64 v[5:6], v[5:6], s[4:5]
	v_cmp_gt_i32_e32 vcc, 31, v8
	v_cndmask_b32_e32 v7, v0, v7, vcc
	v_cmp_ne_u32_e32 vcc, 0, v3
	v_cndmask_b32_e64 v3, 0, 1, vcc
	v_lshl_or_b32 v3, v3, 9, v0
	v_cmp_eq_u32_e32 vcc, s10, v8
	v_cndmask_b32_e32 v3, v7, v3, vcc
	v_lshrrev_b32_e32 v4, 16, v4
	v_and_or_b32 v9, v4, s11, v3
	v_and_or_b32 v3, v6, s6, v5
	v_cmp_ne_u32_e32 vcc, 0, v3
	v_cndmask_b32_e64 v3, 0, 1, vcc
	v_lshrrev_b32_e32 v4, 8, v6
	v_and_or_b32 v5, v4, s7, v3
	v_bfe_u32 v4, v6, 20, 11
	v_sub_u32_e32 v7, 0x3f1, v4
	v_or_b32_e32 v3, 0x1000, v5
	v_med3_i32 v7, v7, 0, 13
	v_lshrrev_b32_e32 v8, v7, v3
	v_lshlrev_b32_e32 v7, v7, v8
	v_cmp_ne_u32_e32 vcc, v7, v3
	v_cndmask_b32_e64 v3, 0, 1, vcc
	v_add_u32_e32 v7, 0xfffffc10, v4
	v_or_b32_e32 v3, v8, v3
	v_lshl_or_b32 v4, v7, 12, v5
	v_cmp_gt_i32_e32 vcc, 1, v7
	v_cndmask_b32_e32 v3, v4, v3, vcc
	v_and_b32_e32 v4, 7, v3
	v_cmp_lt_i32_e32 vcc, 5, v4
	v_cmp_eq_u32_e64 s[0:1], 3, v4
	v_lshrrev_b32_e32 v3, 2, v3
	s_or_b64 vcc, s[0:1], vcc
	v_addc_co_u32_e32 v8, vcc, 0, v3, vcc
	ds_read2_b32 v[3:4], v28 offset0:52 offset1:65
	v_cmp_gt_i32_e32 vcc, 31, v7
	v_cndmask_b32_e32 v8, v0, v8, vcc
	v_cmp_ne_u32_e32 vcc, 0, v5
	v_cndmask_b32_e64 v5, 0, 1, vcc
	s_waitcnt lgkmcnt(0)
	v_lshrrev_b32_e32 v10, 16, v3
	v_mul_f16_sdwa v11, v30, v10 dst_sel:DWORD dst_unused:UNUSED_PAD src0_sel:WORD_1 src1_sel:DWORD
	v_fma_f16 v11, v30, v3, v11
	v_cvt_f32_f16_e32 v11, v11
	v_lshl_or_b32 v5, v5, 9, v0
	v_cmp_eq_u32_e32 vcc, s10, v7
	v_cndmask_b32_e32 v5, v8, v5, vcc
	v_cvt_f64_f32_e32 v[7:8], v11
	v_lshrrev_b32_e32 v6, 16, v6
	v_and_or_b32 v11, v6, s11, v5
	v_add_co_u32_e32 v1, vcc, s3, v1
	v_mul_f64 v[5:6], v[7:8], s[4:5]
	v_mov_b32_e32 v8, s2
	v_and_b32_e32 v9, 0xffff, v9
	v_addc_co_u32_e32 v2, vcc, v2, v8, vcc
	v_lshl_or_b32 v7, v11, 16, v9
	global_store_dword v[1:2], v7, off
	v_mul_f16_sdwa v3, v30, v3 dst_sel:DWORD dst_unused:UNUSED_PAD src0_sel:WORD_1 src1_sel:DWORD
	v_and_or_b32 v5, v6, s6, v5
	v_cmp_ne_u32_e32 vcc, 0, v5
	v_cndmask_b32_e64 v5, 0, 1, vcc
	v_lshrrev_b32_e32 v7, 8, v6
	v_bfe_u32 v8, v6, 20, 11
	v_and_or_b32 v5, v7, s7, v5
	v_sub_u32_e32 v9, 0x3f1, v8
	v_or_b32_e32 v7, 0x1000, v5
	v_med3_i32 v9, v9, 0, 13
	v_lshrrev_b32_e32 v11, v9, v7
	v_lshlrev_b32_e32 v9, v9, v11
	v_cmp_ne_u32_e32 vcc, v9, v7
	v_fma_f16 v3, v30, v10, -v3
	v_cndmask_b32_e64 v7, 0, 1, vcc
	v_add_u32_e32 v9, 0xfffffc10, v8
	v_cvt_f32_f16_e32 v3, v3
	v_or_b32_e32 v7, v11, v7
	v_lshl_or_b32 v8, v9, 12, v5
	v_cmp_gt_i32_e32 vcc, 1, v9
	v_cndmask_b32_e32 v7, v8, v7, vcc
	v_and_b32_e32 v8, 7, v7
	v_cmp_lt_i32_e32 vcc, 5, v8
	v_cmp_eq_u32_e64 s[0:1], 3, v8
	v_lshrrev_b32_e32 v10, 2, v7
	v_cvt_f64_f32_e32 v[7:8], v3
	s_or_b64 vcc, s[0:1], vcc
	v_addc_co_u32_e32 v3, vcc, 0, v10, vcc
	v_mul_f64 v[7:8], v[7:8], s[4:5]
	v_cmp_gt_i32_e32 vcc, 31, v9
	v_cndmask_b32_e32 v3, v0, v3, vcc
	v_cmp_ne_u32_e32 vcc, 0, v5
	v_cndmask_b32_e64 v5, 0, 1, vcc
	v_lshl_or_b32 v5, v5, 9, v0
	v_cmp_eq_u32_e32 vcc, s10, v9
	v_cndmask_b32_e32 v3, v3, v5, vcc
	v_lshrrev_b32_e32 v5, 16, v6
	v_and_or_b32 v3, v5, s11, v3
	v_and_or_b32 v5, v8, s6, v7
	v_cmp_ne_u32_e32 vcc, 0, v5
	v_cndmask_b32_e64 v5, 0, 1, vcc
	v_lshrrev_b32_e32 v6, 8, v8
	v_bfe_u32 v7, v8, 20, 11
	v_and_or_b32 v5, v6, s7, v5
	v_sub_u32_e32 v9, 0x3f1, v7
	v_or_b32_e32 v6, 0x1000, v5
	v_med3_i32 v9, v9, 0, 13
	v_lshrrev_b32_e32 v10, v9, v6
	v_lshlrev_b32_e32 v9, v9, v10
	v_cmp_ne_u32_e32 vcc, v9, v6
	v_cndmask_b32_e64 v6, 0, 1, vcc
	v_add_u32_e32 v7, 0xfffffc10, v7
	v_or_b32_e32 v6, v10, v6
	v_lshl_or_b32 v9, v7, 12, v5
	v_cmp_gt_i32_e32 vcc, 1, v7
	v_cndmask_b32_e32 v6, v9, v6, vcc
	v_and_b32_e32 v9, 7, v6
	v_cmp_lt_i32_e32 vcc, 5, v9
	v_cmp_eq_u32_e64 s[0:1], 3, v9
	v_lshrrev_b32_e32 v9, 16, v4
	v_lshrrev_b32_e32 v6, 2, v6
	s_or_b64 vcc, s[0:1], vcc
	v_mul_f16_sdwa v10, v29, v9 dst_sel:DWORD dst_unused:UNUSED_PAD src0_sel:WORD_1 src1_sel:DWORD
	v_addc_co_u32_e32 v6, vcc, 0, v6, vcc
	v_fma_f16 v10, v29, v4, v10
	v_cmp_gt_i32_e32 vcc, 31, v7
	v_cvt_f32_f16_e32 v10, v10
	v_cndmask_b32_e32 v6, v0, v6, vcc
	v_cmp_ne_u32_e32 vcc, 0, v5
	v_cndmask_b32_e64 v5, 0, 1, vcc
	v_lshl_or_b32 v5, v5, 9, v0
	v_cmp_eq_u32_e32 vcc, s10, v7
	v_cndmask_b32_e32 v7, v6, v5, vcc
	v_cvt_f64_f32_e32 v[5:6], v10
	v_lshrrev_b32_e32 v8, 16, v8
	v_and_or_b32 v7, v8, s11, v7
	v_and_b32_e32 v3, 0xffff, v3
	v_mul_f64 v[5:6], v[5:6], s[4:5]
	v_lshl_or_b32 v3, v7, 16, v3
	v_mov_b32_e32 v7, s2
	v_add_co_u32_e32 v1, vcc, s3, v1
	v_addc_co_u32_e32 v2, vcc, v2, v7, vcc
	global_store_dword v[1:2], v3, off
	v_and_or_b32 v3, v6, s6, v5
	v_cmp_ne_u32_e32 vcc, 0, v3
	v_cndmask_b32_e64 v3, 0, 1, vcc
	v_lshrrev_b32_e32 v5, 8, v6
	v_bfe_u32 v7, v6, 20, 11
	v_and_or_b32 v5, v5, s7, v3
	v_sub_u32_e32 v8, 0x3f1, v7
	v_or_b32_e32 v3, 0x1000, v5
	v_med3_i32 v8, v8, 0, 13
	v_lshrrev_b32_e32 v10, v8, v3
	v_lshlrev_b32_e32 v8, v8, v10
	v_mul_f16_sdwa v4, v29, v4 dst_sel:DWORD dst_unused:UNUSED_PAD src0_sel:WORD_1 src1_sel:DWORD
	v_cmp_ne_u32_e32 vcc, v8, v3
	v_fma_f16 v4, v29, v9, -v4
	v_cndmask_b32_e64 v3, 0, 1, vcc
	v_add_u32_e32 v7, 0xfffffc10, v7
	v_cvt_f32_f16_e32 v4, v4
	v_or_b32_e32 v3, v10, v3
	v_lshl_or_b32 v8, v7, 12, v5
	v_cmp_gt_i32_e32 vcc, 1, v7
	v_cndmask_b32_e32 v3, v8, v3, vcc
	v_and_b32_e32 v8, 7, v3
	v_cmp_lt_i32_e32 vcc, 5, v8
	v_cmp_eq_u32_e64 s[0:1], 3, v8
	v_lshrrev_b32_e32 v8, 2, v3
	v_cvt_f64_f32_e32 v[3:4], v4
	s_or_b64 vcc, s[0:1], vcc
	v_addc_co_u32_e32 v8, vcc, 0, v8, vcc
	v_mul_f64 v[3:4], v[3:4], s[4:5]
	v_cmp_gt_i32_e32 vcc, 31, v7
	v_cndmask_b32_e32 v8, v0, v8, vcc
	v_cmp_ne_u32_e32 vcc, 0, v5
	v_cndmask_b32_e64 v5, 0, 1, vcc
	v_lshl_or_b32 v5, v5, 9, v0
	v_cmp_eq_u32_e32 vcc, s10, v7
	v_cndmask_b32_e32 v5, v8, v5, vcc
	v_and_or_b32 v3, v4, s6, v3
	v_lshrrev_b32_e32 v6, 16, v6
	v_cmp_ne_u32_e32 vcc, 0, v3
	v_and_or_b32 v7, v6, s11, v5
	v_cndmask_b32_e64 v3, 0, 1, vcc
	v_lshrrev_b32_e32 v5, 8, v4
	v_bfe_u32 v6, v4, 20, 11
	v_and_or_b32 v3, v5, s7, v3
	v_sub_u32_e32 v8, 0x3f1, v6
	v_or_b32_e32 v5, 0x1000, v3
	v_med3_i32 v8, v8, 0, 13
	v_lshrrev_b32_e32 v9, v8, v5
	v_lshlrev_b32_e32 v8, v8, v9
	v_cmp_ne_u32_e32 vcc, v8, v5
	v_cndmask_b32_e64 v5, 0, 1, vcc
	v_add_u32_e32 v6, 0xfffffc10, v6
	v_or_b32_e32 v5, v9, v5
	v_lshl_or_b32 v8, v6, 12, v3
	v_cmp_gt_i32_e32 vcc, 1, v6
	v_cndmask_b32_e32 v5, v8, v5, vcc
	v_and_b32_e32 v8, 7, v5
	v_cmp_lt_i32_e32 vcc, 5, v8
	v_cmp_eq_u32_e64 s[0:1], 3, v8
	ds_read_b32 v8, v28 offset:312
	v_lshrrev_b32_e32 v5, 2, v5
	s_or_b64 vcc, s[0:1], vcc
	v_addc_co_u32_e32 v5, vcc, 0, v5, vcc
	s_waitcnt lgkmcnt(0)
	v_lshrrev_b32_e32 v9, 16, v8
	v_mul_f16_sdwa v10, v27, v9 dst_sel:DWORD dst_unused:UNUSED_PAD src0_sel:WORD_1 src1_sel:DWORD
	v_fma_f16 v10, v27, v8, v10
	v_cmp_gt_i32_e32 vcc, 31, v6
	v_cvt_f32_f16_e32 v10, v10
	v_cndmask_b32_e32 v5, v0, v5, vcc
	v_cmp_ne_u32_e32 vcc, 0, v3
	v_cndmask_b32_e64 v3, 0, 1, vcc
	v_lshl_or_b32 v3, v3, 9, v0
	v_cmp_eq_u32_e32 vcc, s10, v6
	v_cndmask_b32_e32 v3, v5, v3, vcc
	v_cvt_f64_f32_e32 v[5:6], v10
	v_lshrrev_b32_e32 v4, 16, v4
	v_and_or_b32 v10, v4, s11, v3
	v_add_co_u32_e32 v1, vcc, s3, v1
	v_mul_f64 v[3:4], v[5:6], s[4:5]
	v_mov_b32_e32 v6, s2
	v_and_b32_e32 v7, 0xffff, v7
	v_addc_co_u32_e32 v2, vcc, v2, v6, vcc
	v_lshl_or_b32 v5, v10, 16, v7
	global_store_dword v[1:2], v5, off
	v_mul_f16_sdwa v8, v27, v8 dst_sel:DWORD dst_unused:UNUSED_PAD src0_sel:WORD_1 src1_sel:DWORD
	v_and_or_b32 v3, v4, s6, v3
	v_cmp_ne_u32_e32 vcc, 0, v3
	v_cndmask_b32_e64 v3, 0, 1, vcc
	v_lshrrev_b32_e32 v5, 8, v4
	v_bfe_u32 v6, v4, 20, 11
	v_and_or_b32 v3, v5, s7, v3
	v_sub_u32_e32 v7, 0x3f1, v6
	v_or_b32_e32 v5, 0x1000, v3
	v_med3_i32 v7, v7, 0, 13
	v_lshrrev_b32_e32 v10, v7, v5
	v_lshlrev_b32_e32 v7, v7, v10
	v_cmp_ne_u32_e32 vcc, v7, v5
	v_fma_f16 v8, v27, v9, -v8
	v_cndmask_b32_e64 v5, 0, 1, vcc
	v_add_u32_e32 v7, 0xfffffc10, v6
	v_cvt_f32_f16_e32 v8, v8
	v_or_b32_e32 v5, v10, v5
	v_lshl_or_b32 v6, v7, 12, v3
	v_cmp_gt_i32_e32 vcc, 1, v7
	v_cndmask_b32_e32 v5, v6, v5, vcc
	v_and_b32_e32 v6, 7, v5
	v_cmp_lt_i32_e32 vcc, 5, v6
	v_cmp_eq_u32_e64 s[0:1], 3, v6
	v_lshrrev_b32_e32 v9, 2, v5
	v_cvt_f64_f32_e32 v[5:6], v8
	s_or_b64 vcc, s[0:1], vcc
	v_addc_co_u32_e32 v8, vcc, 0, v9, vcc
	v_mul_f64 v[5:6], v[5:6], s[4:5]
	v_cmp_gt_i32_e32 vcc, 31, v7
	v_cndmask_b32_e32 v8, v0, v8, vcc
	v_cmp_ne_u32_e32 vcc, 0, v3
	v_cndmask_b32_e64 v3, 0, 1, vcc
	v_lshl_or_b32 v3, v3, 9, v0
	v_cmp_eq_u32_e32 vcc, s10, v7
	v_cndmask_b32_e32 v3, v8, v3, vcc
	v_lshrrev_b32_e32 v4, 16, v4
	v_and_or_b32 v3, v4, s11, v3
	v_and_or_b32 v4, v6, s6, v5
	v_cmp_ne_u32_e32 vcc, 0, v4
	v_cndmask_b32_e64 v4, 0, 1, vcc
	v_lshrrev_b32_e32 v5, 8, v6
	v_bfe_u32 v7, v6, 20, 11
	v_and_or_b32 v4, v5, s7, v4
	v_sub_u32_e32 v8, 0x3f1, v7
	v_or_b32_e32 v5, 0x1000, v4
	v_med3_i32 v8, v8, 0, 13
	v_lshrrev_b32_e32 v9, v8, v5
	v_lshlrev_b32_e32 v8, v8, v9
	v_cmp_ne_u32_e32 vcc, v8, v5
	v_cndmask_b32_e64 v5, 0, 1, vcc
	v_add_u32_e32 v7, 0xfffffc10, v7
	v_or_b32_e32 v5, v9, v5
	v_lshl_or_b32 v8, v7, 12, v4
	v_cmp_gt_i32_e32 vcc, 1, v7
	v_cndmask_b32_e32 v5, v8, v5, vcc
	v_and_b32_e32 v8, 7, v5
	v_cmp_lt_i32_e32 vcc, 5, v8
	v_cmp_eq_u32_e64 s[0:1], 3, v8
	v_lshrrev_b32_e32 v5, 2, v5
	s_or_b64 vcc, s[0:1], vcc
	v_addc_co_u32_e32 v5, vcc, 0, v5, vcc
	v_cmp_gt_i32_e32 vcc, 31, v7
	v_cndmask_b32_e32 v5, v0, v5, vcc
	v_cmp_ne_u32_e32 vcc, 0, v4
	v_cndmask_b32_e64 v4, 0, 1, vcc
	v_lshl_or_b32 v0, v4, 9, v0
	v_cmp_eq_u32_e32 vcc, s10, v7
	v_cndmask_b32_e32 v0, v5, v0, vcc
	v_lshrrev_b32_e32 v4, 16, v6
	v_and_or_b32 v0, v4, s11, v0
	v_and_b32_e32 v3, 0xffff, v3
	v_lshl_or_b32 v3, v0, 16, v3
	v_mov_b32_e32 v4, s2
	v_add_co_u32_e32 v0, vcc, s3, v1
	v_addc_co_u32_e32 v1, vcc, v2, v4, vcc
	global_store_dword v[0:1], v3, off
.LBB0_10:
	s_endpgm
	.section	.rodata,"a",@progbits
	.p2align	6, 0x0
	.amdhsa_kernel bluestein_single_back_len91_dim1_half_op_CI_CI
		.amdhsa_group_segment_fixed_size 6916
		.amdhsa_private_segment_fixed_size 0
		.amdhsa_kernarg_size 104
		.amdhsa_user_sgpr_count 6
		.amdhsa_user_sgpr_private_segment_buffer 1
		.amdhsa_user_sgpr_dispatch_ptr 0
		.amdhsa_user_sgpr_queue_ptr 0
		.amdhsa_user_sgpr_kernarg_segment_ptr 1
		.amdhsa_user_sgpr_dispatch_id 0
		.amdhsa_user_sgpr_flat_scratch_init 0
		.amdhsa_user_sgpr_private_segment_size 0
		.amdhsa_uses_dynamic_stack 0
		.amdhsa_system_sgpr_private_segment_wavefront_offset 0
		.amdhsa_system_sgpr_workgroup_id_x 1
		.amdhsa_system_sgpr_workgroup_id_y 0
		.amdhsa_system_sgpr_workgroup_id_z 0
		.amdhsa_system_sgpr_workgroup_info 0
		.amdhsa_system_vgpr_workitem_id 0
		.amdhsa_next_free_vgpr 208
		.amdhsa_next_free_sgpr 26
		.amdhsa_reserve_vcc 1
		.amdhsa_reserve_flat_scratch 0
		.amdhsa_float_round_mode_32 0
		.amdhsa_float_round_mode_16_64 0
		.amdhsa_float_denorm_mode_32 3
		.amdhsa_float_denorm_mode_16_64 3
		.amdhsa_dx10_clamp 1
		.amdhsa_ieee_mode 1
		.amdhsa_fp16_overflow 0
		.amdhsa_exception_fp_ieee_invalid_op 0
		.amdhsa_exception_fp_denorm_src 0
		.amdhsa_exception_fp_ieee_div_zero 0
		.amdhsa_exception_fp_ieee_overflow 0
		.amdhsa_exception_fp_ieee_underflow 0
		.amdhsa_exception_fp_ieee_inexact 0
		.amdhsa_exception_int_div_zero 0
	.end_amdhsa_kernel
	.text
.Lfunc_end0:
	.size	bluestein_single_back_len91_dim1_half_op_CI_CI, .Lfunc_end0-bluestein_single_back_len91_dim1_half_op_CI_CI
                                        ; -- End function
	.section	.AMDGPU.csdata,"",@progbits
; Kernel info:
; codeLenInByte = 12992
; NumSgprs: 30
; NumVgprs: 208
; ScratchSize: 0
; MemoryBound: 0
; FloatMode: 240
; IeeeMode: 1
; LDSByteSize: 6916 bytes/workgroup (compile time only)
; SGPRBlocks: 3
; VGPRBlocks: 51
; NumSGPRsForWavesPerEU: 30
; NumVGPRsForWavesPerEU: 208
; Occupancy: 1
; WaveLimiterHint : 1
; COMPUTE_PGM_RSRC2:SCRATCH_EN: 0
; COMPUTE_PGM_RSRC2:USER_SGPR: 6
; COMPUTE_PGM_RSRC2:TRAP_HANDLER: 0
; COMPUTE_PGM_RSRC2:TGID_X_EN: 1
; COMPUTE_PGM_RSRC2:TGID_Y_EN: 0
; COMPUTE_PGM_RSRC2:TGID_Z_EN: 0
; COMPUTE_PGM_RSRC2:TIDIG_COMP_CNT: 0
	.type	__hip_cuid_f3f51880a99e45c3,@object ; @__hip_cuid_f3f51880a99e45c3
	.section	.bss,"aw",@nobits
	.globl	__hip_cuid_f3f51880a99e45c3
__hip_cuid_f3f51880a99e45c3:
	.byte	0                               ; 0x0
	.size	__hip_cuid_f3f51880a99e45c3, 1

	.ident	"AMD clang version 19.0.0git (https://github.com/RadeonOpenCompute/llvm-project roc-6.4.0 25133 c7fe45cf4b819c5991fe208aaa96edf142730f1d)"
	.section	".note.GNU-stack","",@progbits
	.addrsig
	.addrsig_sym __hip_cuid_f3f51880a99e45c3
	.amdgpu_metadata
---
amdhsa.kernels:
  - .args:
      - .actual_access:  read_only
        .address_space:  global
        .offset:         0
        .size:           8
        .value_kind:     global_buffer
      - .actual_access:  read_only
        .address_space:  global
        .offset:         8
        .size:           8
        .value_kind:     global_buffer
      - .actual_access:  read_only
        .address_space:  global
        .offset:         16
        .size:           8
        .value_kind:     global_buffer
      - .actual_access:  read_only
        .address_space:  global
        .offset:         24
        .size:           8
        .value_kind:     global_buffer
      - .actual_access:  read_only
        .address_space:  global
        .offset:         32
        .size:           8
        .value_kind:     global_buffer
      - .offset:         40
        .size:           8
        .value_kind:     by_value
      - .address_space:  global
        .offset:         48
        .size:           8
        .value_kind:     global_buffer
      - .address_space:  global
        .offset:         56
        .size:           8
        .value_kind:     global_buffer
      - .address_space:  global
        .offset:         64
        .size:           8
        .value_kind:     global_buffer
      - .address_space:  global
        .offset:         72
        .size:           8
        .value_kind:     global_buffer
      - .offset:         80
        .size:           4
        .value_kind:     by_value
      - .address_space:  global
        .offset:         88
        .size:           8
        .value_kind:     global_buffer
      - .address_space:  global
        .offset:         96
        .size:           8
        .value_kind:     global_buffer
    .group_segment_fixed_size: 6916
    .kernarg_segment_align: 8
    .kernarg_segment_size: 104
    .language:       OpenCL C
    .language_version:
      - 2
      - 0
    .max_flat_workgroup_size: 247
    .name:           bluestein_single_back_len91_dim1_half_op_CI_CI
    .private_segment_fixed_size: 0
    .sgpr_count:     30
    .sgpr_spill_count: 0
    .symbol:         bluestein_single_back_len91_dim1_half_op_CI_CI.kd
    .uniform_work_group_size: 1
    .uses_dynamic_stack: false
    .vgpr_count:     208
    .vgpr_spill_count: 0
    .wavefront_size: 64
amdhsa.target:   amdgcn-amd-amdhsa--gfx906
amdhsa.version:
  - 1
  - 2
...

	.end_amdgpu_metadata
